;; amdgpu-corpus repo=ROCm/rocFFT kind=compiled arch=gfx90a opt=O3
	.text
	.amdgcn_target "amdgcn-amd-amdhsa--gfx90a"
	.amdhsa_code_object_version 6
	.protected	bluestein_single_fwd_len1309_dim1_dp_op_CI_CI ; -- Begin function bluestein_single_fwd_len1309_dim1_dp_op_CI_CI
	.globl	bluestein_single_fwd_len1309_dim1_dp_op_CI_CI
	.p2align	8
	.type	bluestein_single_fwd_len1309_dim1_dp_op_CI_CI,@function
bluestein_single_fwd_len1309_dim1_dp_op_CI_CI: ; @bluestein_single_fwd_len1309_dim1_dp_op_CI_CI
; %bb.0:
	s_load_dwordx4 s[0:3], s[4:5], 0x28
	v_mul_u32_u24_e32 v1, 0x227, v0
	v_add_u32_sdwa v2, s6, v1 dst_sel:DWORD dst_unused:UNUSED_PAD src0_sel:DWORD src1_sel:WORD_1
	v_mov_b32_e32 v3, 0
	v_accvgpr_write_b32 a0, v2
	s_waitcnt lgkmcnt(0)
	v_cmp_gt_u64_e32 vcc, s[0:1], v[2:3]
	s_and_saveexec_b64 s[0:1], vcc
	s_cbranch_execz .LBB0_23
; %bb.1:
	s_load_dwordx2 s[12:13], s[4:5], 0x0
	s_load_dwordx2 s[14:15], s[4:5], 0x38
	s_movk_i32 s0, 0x77
	v_mul_lo_u16_sdwa v1, v1, s0 dst_sel:DWORD dst_unused:UNUSED_PAD src0_sel:WORD_1 src1_sel:DWORD
	v_sub_u16_e32 v142, v0, v1
	s_movk_i32 s0, 0x4d
	v_cmp_gt_u16_e64 s[0:1], s0, v142
	v_lshlrev_b32_e32 v36, 4, v142
	s_and_saveexec_b64 s[6:7], s[0:1]
	s_cbranch_execz .LBB0_3
; %bb.2:
	s_load_dwordx2 s[8:9], s[4:5], 0x18
	v_accvgpr_read_b32 v8, a0
	s_waitcnt lgkmcnt(0)
	v_mov_b32_e32 v20, s13
	v_mov_b32_e32 v34, 0x4d0
	s_load_dwordx4 s[8:11], s[8:9], 0x0
	s_waitcnt lgkmcnt(0)
	v_mad_u64_u32 v[0:1], s[16:17], s10, v8, 0
	v_mov_b32_e32 v4, v1
	v_mad_u64_u32 v[2:3], s[16:17], s8, v142, 0
	v_mad_u64_u32 v[4:5], s[10:11], s11, v8, v[4:5]
	v_mov_b32_e32 v6, v3
	v_mov_b32_e32 v1, v4
	v_mad_u64_u32 v[6:7], s[10:11], s9, v142, v[6:7]
	v_lshlrev_b64 v[0:1], 4, v[0:1]
	v_mov_b32_e32 v3, v6
	v_mov_b32_e32 v4, s3
	v_add_co_u32_e32 v5, vcc, s2, v0
	v_addc_co_u32_e32 v4, vcc, v4, v1, vcc
	v_lshlrev_b64 v[0:1], 4, v[2:3]
	v_add_co_u32_e32 v32, vcc, v5, v0
	v_addc_co_u32_e32 v33, vcc, v4, v1, vcc
	v_add_co_u32_e32 v35, vcc, s12, v36
	s_movk_i32 s2, 0x1000
	v_addc_co_u32_e32 v37, vcc, 0, v20, vcc
	v_add_co_u32_e32 v50, vcc, s2, v35
	global_load_dwordx4 v[0:3], v[32:33], off
	global_load_dwordx4 v[4:7], v36, s[12:13]
	s_movk_i32 s3, 0x2000
	v_addc_co_u32_e32 v51, vcc, 0, v37, vcc
	s_mul_i32 s2, s9, 0x4d0
	v_mad_u64_u32 v[32:33], s[10:11], s8, v34, v[32:33]
	v_add_co_u32_e32 v52, vcc, s3, v35
	v_add_u32_e32 v33, s2, v33
	v_addc_co_u32_e32 v53, vcc, 0, v37, vcc
	v_mad_u64_u32 v[58:59], s[10:11], s8, v34, v[32:33]
	global_load_dwordx4 v[8:11], v36, s[12:13] offset:1232
	global_load_dwordx4 v[12:15], v36, s[12:13] offset:2464
	;; [unrolled: 1-line block ×3, first 2 shown]
	global_load_dwordx4 v[38:41], v[50:51], off offset:832
	global_load_dwordx4 v[42:45], v[50:51], off offset:2064
	;; [unrolled: 1-line block ×6, first 2 shown]
	v_add_u32_e32 v59, s2, v59
	global_load_dwordx4 v[50:53], v[32:33], off
	global_load_dwordx4 v[54:57], v[58:59], off
	v_mad_u64_u32 v[32:33], s[10:11], s8, v34, v[58:59]
	v_add_u32_e32 v33, s2, v33
	v_mad_u64_u32 v[66:67], s[10:11], s8, v34, v[32:33]
	v_add_u32_e32 v67, s2, v67
	global_load_dwordx4 v[58:61], v[32:33], off
	global_load_dwordx4 v[62:65], v[66:67], off
	v_mad_u64_u32 v[32:33], s[10:11], s8, v34, v[66:67]
	v_add_u32_e32 v33, s2, v33
	global_load_dwordx4 v[66:69], v[32:33], off
	v_mad_u64_u32 v[32:33], s[10:11], s8, v34, v[32:33]
	v_add_u32_e32 v33, s2, v33
	;; [unrolled: 3-line block ×5, first 2 shown]
	v_mad_u64_u32 v[90:91], s[10:11], s8, v34, v[32:33]
	global_load_dwordx4 v[82:85], v[32:33], off
	v_add_u32_e32 v91, s2, v91
	s_movk_i32 s16, 0x3000
	v_mad_u64_u32 v[102:103], s[10:11], s8, v34, v[90:91]
	global_load_dwordx4 v[86:89], v[90:91], off
	v_add_co_u32_e32 v118, vcc, s16, v35
	v_add_u32_e32 v103, s2, v103
	v_addc_co_u32_e32 v119, vcc, 0, v37, vcc
	global_load_dwordx4 v[90:93], v[102:103], off
	global_load_dwordx4 v[94:97], v[118:119], off offset:32
	global_load_dwordx4 v[98:101], v[118:119], off offset:1264
	v_mad_u64_u32 v[106:107], s[10:11], s8, v34, v[102:103]
	v_add_u32_e32 v107, s2, v107
	v_mad_u64_u32 v[120:121], s[10:11], s8, v34, v[106:107]
	global_load_dwordx4 v[102:105], v[106:107], off
	v_add_u32_e32 v121, s2, v121
	global_load_dwordx4 v[106:109], v[120:121], off
	global_load_dwordx4 v[110:113], v[118:119], off offset:2496
	global_load_dwordx4 v[114:117], v[118:119], off offset:3728
	s_movk_i32 s3, 0x4000
	v_mad_u64_u32 v[126:127], s[10:11], s8, v34, v[120:121]
	v_add_co_u32_e32 v138, vcc, s3, v35
	v_add_u32_e32 v127, s2, v127
	v_addc_co_u32_e32 v139, vcc, 0, v37, vcc
	global_load_dwordx4 v[118:121], v[126:127], off
	global_load_dwordx4 v[122:125], v[138:139], off offset:864
	v_mad_u64_u32 v[134:135], s[10:11], s8, v34, v[126:127]
	v_add_u32_e32 v135, s2, v135
	global_load_dwordx4 v[126:129], v[134:135], off
	global_load_dwordx4 v[130:133], v[138:139], off offset:2096
	v_mad_u64_u32 v[34:35], s[8:9], s8, v34, v[134:135]
	v_add_u32_e32 v35, s2, v35
	global_load_dwordx4 v[134:137], v[34:35], off
	s_nop 0
	global_load_dwordx4 v[138:141], v[138:139], off offset:3328
	s_waitcnt vmcnt(32)
	v_mul_f64 v[32:33], v[2:3], v[6:7]
	v_fmac_f64_e32 v[32:33], v[0:1], v[4:5]
	v_mul_f64 v[0:1], v[0:1], v[6:7]
	v_fma_f64 v[34:35], v[2:3], v[4:5], -v[0:1]
	ds_write_b128 v36, v[32:35]
	s_waitcnt vmcnt(22)
	v_mul_f64 v[0:1], v[52:53], v[10:11]
	v_mul_f64 v[2:3], v[50:51], v[10:11]
	v_fmac_f64_e32 v[0:1], v[50:51], v[8:9]
	v_fma_f64 v[2:3], v[52:53], v[8:9], -v[2:3]
	ds_write_b128 v36, v[0:3] offset:1232
	s_waitcnt vmcnt(21)
	v_mul_f64 v[0:1], v[56:57], v[14:15]
	v_mul_f64 v[2:3], v[54:55], v[14:15]
	v_fmac_f64_e32 v[0:1], v[54:55], v[12:13]
	v_fma_f64 v[2:3], v[56:57], v[12:13], -v[2:3]
	ds_write_b128 v36, v[0:3] offset:2464
	;; [unrolled: 6-line block ×16, first 2 shown]
.LBB0_3:
	s_or_b64 exec, exec, s[6:7]
	v_accvgpr_write_b32 a1, v142
	s_waitcnt lgkmcnt(0)
	s_barrier
	s_waitcnt lgkmcnt(0)
                                        ; implicit-def: $vgpr12_vgpr13
                                        ; implicit-def: $vgpr16_vgpr17
                                        ; implicit-def: $vgpr20_vgpr21
                                        ; implicit-def: $vgpr24_vgpr25
                                        ; implicit-def: $vgpr28_vgpr29
                                        ; implicit-def: $vgpr32_vgpr33
                                        ; implicit-def: $vgpr204_vgpr205
                                        ; implicit-def: $vgpr40_vgpr41
                                        ; implicit-def: $vgpr44_vgpr45
                                        ; implicit-def: $vgpr48_vgpr49
                                        ; implicit-def: $vgpr52_vgpr53
                                        ; implicit-def: $vgpr56_vgpr57
                                        ; implicit-def: $vgpr60_vgpr61
                                        ; implicit-def: $vgpr64_vgpr65
                                        ; implicit-def: $vgpr68_vgpr69
                                        ; implicit-def: $vgpr72_vgpr73
                                        ; implicit-def: $vgpr76_vgpr77
	s_and_saveexec_b64 s[2:3], s[0:1]
	s_cbranch_execz .LBB0_5
; %bb.4:
	ds_read_b128 v[12:15], v36
	ds_read_b128 v[16:19], v36 offset:1232
	ds_read_b128 v[20:23], v36 offset:2464
	;; [unrolled: 1-line block ×16, first 2 shown]
.LBB0_5:
	s_or_b64 exec, exec, s[2:3]
	s_mov_b32 s38, 0x5d8e7cdc
	s_waitcnt lgkmcnt(0)
	v_add_f64 v[2:3], v[18:19], -v[78:79]
	s_mov_b32 s39, 0xbfd71e95
	s_mov_b32 s44, 0x2a9d6da3
	v_add_f64 v[0:1], v[16:17], -v[76:77]
	s_mov_b32 s2, 0x370991
	v_mul_f64 v[4:5], v[2:3], s[38:39]
	s_mov_b32 s45, 0xbfe58eea
	v_add_f64 v[108:109], v[22:23], -v[74:75]
	v_add_f64 v[130:131], v[16:17], v[76:77]
	s_mov_b32 s3, 0x3fedd6d0
	v_mul_f64 v[6:7], v[0:1], s[38:39]
	v_accvgpr_write_b32 a17, v5
	s_mov_b32 s10, 0x75d4884
	v_mul_f64 v[110:111], v[108:109], s[44:45]
	v_add_f64 v[132:133], v[18:19], v[78:79]
	v_accvgpr_write_b32 a16, v4
	v_fma_f64 v[4:5], s[2:3], v[130:131], v[4:5]
	v_accvgpr_write_b32 a19, v7
	s_mov_b32 s11, 0x3fe7a5f6
	v_add_f64 v[146:147], v[20:21], v[72:73]
	v_add_f64 v[106:107], v[20:21], -v[72:73]
	v_accvgpr_write_b32 a28, v110
	v_add_f64 v[4:5], v[12:13], v[4:5]
	v_accvgpr_write_b32 a18, v6
	v_fma_f64 v[6:7], v[132:133], s[2:3], -v[6:7]
	s_mov_b32 s42, 0xeb564b22
	v_add_f64 v[148:149], v[22:23], v[74:75]
	v_mul_f64 v[112:113], v[106:107], s[44:45]
	v_accvgpr_write_b32 a29, v111
	v_fma_f64 v[110:111], s[10:11], v[146:147], v[110:111]
	v_add_f64 v[6:7], v[14:15], v[6:7]
	v_mul_f64 v[8:9], v[2:3], s[44:45]
	s_mov_b32 s43, 0xbfefdd0d
	v_add_f64 v[4:5], v[110:111], v[4:5]
	v_fma_f64 v[110:111], v[148:149], s[10:11], -v[112:113]
	v_mul_f64 v[10:11], v[0:1], s[44:45]
	v_accvgpr_write_b32 a21, v9
	s_mov_b32 s18, 0x3259b75e
	v_add_f64 v[6:7], v[110:111], v[6:7]
	v_mul_f64 v[110:111], v[108:109], s[42:43]
	v_accvgpr_write_b32 a20, v8
	v_fma_f64 v[8:9], s[10:11], v[130:131], v[8:9]
	v_accvgpr_write_b32 a23, v11
	s_mov_b32 s34, 0x7c9e640b
	s_mov_b32 s19, 0x3fb79ee6
	v_accvgpr_write_b32 a30, v112
	v_accvgpr_write_b32 a34, v110
	v_add_f64 v[8:9], v[12:13], v[8:9]
	v_accvgpr_write_b32 a22, v10
	v_fma_f64 v[10:11], v[132:133], s[10:11], -v[10:11]
	s_mov_b32 s35, 0xbfeca52d
	s_mov_b32 s28, 0x6c9a05f6
	v_accvgpr_write_b32 a31, v113
	v_mul_f64 v[112:113], v[106:107], s[42:43]
	v_accvgpr_write_b32 a35, v111
	v_fma_f64 v[110:111], s[18:19], v[146:147], v[110:111]
	s_load_dwordx2 s[6:7], s[4:5], 0x20
	s_load_dwordx2 s[8:9], s[4:5], 0x8
	v_add_f64 v[10:11], v[14:15], v[10:11]
	s_mov_b32 s4, 0x2b2883cd
	v_mul_f64 v[38:39], v[2:3], s[34:35]
	s_mov_b32 s29, 0xbfe9895b
	v_add_f64 v[8:9], v[110:111], v[8:9]
	v_fma_f64 v[110:111], v[148:149], s[18:19], -v[112:113]
	s_mov_b32 s5, 0x3fdc86fa
	v_mul_f64 v[80:81], v[0:1], s[34:35]
	v_accvgpr_write_b32 a24, v38
	s_mov_b32 s20, 0x6ed5f1bb
	v_add_f64 v[10:11], v[110:111], v[10:11]
	v_mul_f64 v[110:111], v[108:109], s[28:29]
	v_accvgpr_write_b32 a25, v39
	v_fma_f64 v[38:39], s[4:5], v[130:131], v[38:39]
	v_accvgpr_write_b32 a26, v80
	s_mov_b32 s21, 0xbfe348c8
	v_accvgpr_write_b32 a38, v112
	v_accvgpr_write_b32 a44, v110
	v_add_f64 v[38:39], v[12:13], v[38:39]
	v_accvgpr_write_b32 a27, v81
	v_fma_f64 v[80:81], v[132:133], s[4:5], -v[80:81]
	s_mov_b32 s40, 0xacd6c6b4
	v_accvgpr_write_b32 a39, v113
	v_mul_f64 v[112:113], v[106:107], s[28:29]
	v_accvgpr_write_b32 a45, v111
	v_fma_f64 v[110:111], s[20:21], v[146:147], v[110:111]
	v_add_f64 v[80:81], v[14:15], v[80:81]
	v_mul_f64 v[82:83], v[2:3], s[42:43]
	s_mov_b32 s41, 0xbfc7851a
	v_add_f64 v[38:39], v[110:111], v[38:39]
	v_fma_f64 v[110:111], v[148:149], s[20:21], -v[112:113]
	v_mul_f64 v[84:85], v[0:1], s[42:43]
	v_accvgpr_write_b32 a32, v82
	s_mov_b32 s24, 0x7faef3
	v_add_f64 v[80:81], v[110:111], v[80:81]
	v_mul_f64 v[110:111], v[108:109], s[40:41]
	v_accvgpr_write_b32 a33, v83
	v_fma_f64 v[82:83], s[18:19], v[130:131], v[82:83]
	v_accvgpr_write_b32 a36, v84
	s_mov_b32 s26, 0x923c349f
	s_mov_b32 s25, 0xbfef7484
	v_accvgpr_write_b32 a52, v112
	v_accvgpr_write_b32 a58, v110
	v_add_f64 v[82:83], v[12:13], v[82:83]
	v_accvgpr_write_b32 a37, v85
	v_fma_f64 v[84:85], v[132:133], s[18:19], -v[84:85]
	s_mov_b32 s27, 0xbfeec746
	s_mov_b32 s36, 0x4363dd80
	v_accvgpr_write_b32 a53, v113
	v_mul_f64 v[112:113], v[106:107], s[40:41]
	v_accvgpr_write_b32 a59, v111
	v_fma_f64 v[110:111], s[24:25], v[146:147], v[110:111]
	v_add_f64 v[84:85], v[14:15], v[84:85]
	s_mov_b32 s16, 0xc61f0d01
	v_mul_f64 v[86:87], v[2:3], s[26:27]
	s_mov_b32 s37, 0xbfe0d888
	v_add_f64 v[82:83], v[110:111], v[82:83]
	v_fma_f64 v[110:111], v[148:149], s[24:25], -v[112:113]
	s_mov_b32 s55, 0x3fe0d888
	s_mov_b32 s54, s36
	;; [unrolled: 1-line block ×3, first 2 shown]
	v_mul_f64 v[88:89], v[0:1], s[26:27]
	v_accvgpr_write_b32 a40, v86
	s_mov_b32 s22, 0x910ea3b9
	v_add_f64 v[84:85], v[110:111], v[84:85]
	v_mul_f64 v[110:111], v[108:109], s[54:55]
	v_accvgpr_write_b32 a41, v87
	v_fma_f64 v[86:87], s[16:17], v[130:131], v[86:87]
	v_accvgpr_write_b32 a42, v88
	s_mov_b32 s23, 0xbfeb34fa
	v_accvgpr_write_b32 a62, v112
	v_accvgpr_write_b32 a64, v110
	v_add_f64 v[86:87], v[12:13], v[86:87]
	v_accvgpr_write_b32 a43, v89
	v_fma_f64 v[88:89], v[132:133], s[16:17], -v[88:89]
	v_accvgpr_write_b32 a63, v113
	v_mul_f64 v[112:113], v[106:107], s[54:55]
	v_accvgpr_write_b32 a65, v111
	v_fma_f64 v[110:111], s[22:23], v[146:147], v[110:111]
	v_add_f64 v[88:89], v[14:15], v[88:89]
	v_mul_f64 v[90:91], v[2:3], s[28:29]
	v_add_f64 v[86:87], v[110:111], v[86:87]
	v_fma_f64 v[110:111], v[148:149], s[22:23], -v[112:113]
	s_mov_b32 s51, 0x3feec746
	s_mov_b32 s50, s26
	v_mul_f64 v[92:93], v[0:1], s[28:29]
	v_accvgpr_write_b32 a48, v90
	v_add_f64 v[88:89], v[110:111], v[88:89]
	v_mul_f64 v[110:111], v[108:109], s[50:51]
	v_accvgpr_write_b32 a49, v91
	v_fma_f64 v[90:91], s[20:21], v[130:131], v[90:91]
	v_accvgpr_write_b32 a54, v92
	v_accvgpr_write_b32 a66, v112
	;; [unrolled: 1-line block ×3, first 2 shown]
	v_add_f64 v[90:91], v[12:13], v[90:91]
	v_accvgpr_write_b32 a55, v93
	v_fma_f64 v[92:93], v[132:133], s[20:21], -v[92:93]
	v_accvgpr_write_b32 a67, v113
	v_mul_f64 v[112:113], v[106:107], s[50:51]
	v_accvgpr_write_b32 a75, v111
	v_fma_f64 v[110:111], s[16:17], v[146:147], v[110:111]
	v_add_f64 v[92:93], v[14:15], v[92:93]
	v_mul_f64 v[94:95], v[2:3], s[36:37]
	v_add_f64 v[90:91], v[110:111], v[90:91]
	v_fma_f64 v[110:111], v[148:149], s[16:17], -v[112:113]
	s_mov_b32 s31, 0x3feca52d
	s_mov_b32 s30, s34
	v_fma_f64 v[96:97], v[130:131], s[22:23], -v[94:95]
	v_accvgpr_write_b32 a80, v112
	v_add_f64 v[92:93], v[110:111], v[92:93]
	v_mul_f64 v[110:111], v[108:109], s[30:31]
	v_add_f64 v[96:97], v[12:13], v[96:97]
	v_mul_f64 v[98:99], v[0:1], s[36:37]
	v_fmac_f64_e32 v[94:95], s[22:23], v[130:131]
	v_accvgpr_write_b32 a81, v113
	v_fma_f64 v[112:113], v[146:147], s[4:5], -v[110:111]
	v_fma_f64 v[100:101], s[22:23], v[132:133], v[98:99]
	v_add_f64 v[94:95], v[12:13], v[94:95]
	v_fma_f64 v[98:99], v[132:133], s[22:23], -v[98:99]
	v_mul_f64 v[2:3], v[2:3], s[40:41]
	v_add_f64 v[96:97], v[112:113], v[96:97]
	v_mul_f64 v[112:113], v[106:107], s[30:31]
	v_fmac_f64_e32 v[110:111], s[4:5], v[146:147]
	s_mov_b32 s49, 0x3fd71e95
	s_mov_b32 s48, s38
	v_add_f64 v[98:99], v[14:15], v[98:99]
	v_fma_f64 v[102:103], v[130:131], s[24:25], -v[2:3]
	v_mul_f64 v[0:1], v[0:1], s[40:41]
	v_fmac_f64_e32 v[2:3], s[24:25], v[130:131]
	v_add_f64 v[94:95], v[110:111], v[94:95]
	v_fma_f64 v[110:111], v[148:149], s[4:5], -v[112:113]
	v_mul_f64 v[108:109], v[108:109], s[48:49]
	v_add_f64 v[102:103], v[12:13], v[102:103]
	v_fma_f64 v[104:105], s[24:25], v[132:133], v[0:1]
	v_add_f64 v[2:3], v[12:13], v[2:3]
	v_add_f64 v[98:99], v[110:111], v[98:99]
	v_fma_f64 v[110:111], v[146:147], s[2:3], -v[108:109]
	v_mul_f64 v[106:107], v[106:107], s[48:49]
	v_fmac_f64_e32 v[108:109], s[2:3], v[146:147]
	v_add_f64 v[104:105], v[14:15], v[104:105]
	v_fma_f64 v[0:1], v[132:133], s[24:25], -v[0:1]
	v_add_f64 v[102:103], v[110:111], v[102:103]
	v_fma_f64 v[110:111], s[2:3], v[148:149], v[106:107]
	v_add_f64 v[2:3], v[108:109], v[2:3]
	v_add_f64 v[108:109], v[26:27], -v[70:71]
	v_add_f64 v[0:1], v[14:15], v[0:1]
	v_add_f64 v[104:105], v[110:111], v[104:105]
	v_fma_f64 v[106:107], v[148:149], s[2:3], -v[106:107]
	v_mul_f64 v[110:111], v[108:109], s[34:35]
	v_add_f64 v[0:1], v[106:107], v[0:1]
	v_add_f64 v[166:167], v[24:25], v[68:69]
	v_add_f64 v[106:107], v[24:25], -v[68:69]
	v_accvgpr_write_b32 a46, v110
	v_fma_f64 v[114:115], s[4:5], v[148:149], v[112:113]
	v_add_f64 v[168:169], v[26:27], v[70:71]
	v_mul_f64 v[112:113], v[106:107], s[34:35]
	v_accvgpr_write_b32 a47, v111
	v_fma_f64 v[110:111], s[4:5], v[166:167], v[110:111]
	v_add_f64 v[4:5], v[110:111], v[4:5]
	v_fma_f64 v[110:111], v[168:169], s[4:5], -v[112:113]
	v_add_f64 v[6:7], v[110:111], v[6:7]
	v_mul_f64 v[110:111], v[108:109], s[28:29]
	v_accvgpr_write_b32 a50, v112
	v_accvgpr_write_b32 a56, v110
	v_accvgpr_write_b32 a51, v113
	v_mul_f64 v[112:113], v[106:107], s[28:29]
	v_accvgpr_write_b32 a57, v111
	v_fma_f64 v[110:111], s[20:21], v[166:167], v[110:111]
	v_add_f64 v[8:9], v[110:111], v[8:9]
	v_fma_f64 v[110:111], v[168:169], s[20:21], -v[112:113]
	s_mov_b32 s47, 0x3fc7851a
	s_mov_b32 s46, s40
	v_add_f64 v[10:11], v[110:111], v[10:11]
	v_mul_f64 v[110:111], v[108:109], s[46:47]
	v_accvgpr_write_b32 a60, v112
	v_accvgpr_write_b32 a68, v110
	;; [unrolled: 1-line block ×3, first 2 shown]
	v_mul_f64 v[112:113], v[106:107], s[46:47]
	v_accvgpr_write_b32 a69, v111
	v_fma_f64 v[110:111], s[24:25], v[166:167], v[110:111]
	v_add_f64 v[110:111], v[110:111], v[38:39]
	v_fma_f64 v[38:39], v[168:169], s[24:25], -v[112:113]
	v_add_f64 v[80:81], v[38:39], v[80:81]
	v_mul_f64 v[38:39], v[108:109], s[50:51]
	v_accvgpr_write_b32 a76, v112
	v_accvgpr_write_b32 a85, v39
	;; [unrolled: 1-line block ×3, first 2 shown]
	v_mul_f64 v[112:113], v[106:107], s[50:51]
	v_accvgpr_write_b32 a84, v38
	v_fma_f64 v[38:39], s[16:17], v[166:167], v[38:39]
	v_add_f64 v[82:83], v[38:39], v[82:83]
	v_fma_f64 v[38:39], v[168:169], s[16:17], -v[112:113]
	s_mov_b32 s47, 0x3fe58eea
	s_mov_b32 s46, s44
	v_add_f64 v[84:85], v[38:39], v[84:85]
	v_mul_f64 v[38:39], v[108:109], s[46:47]
	v_accvgpr_write_b32 a86, v112
	v_accvgpr_write_b32 a89, v39
	;; [unrolled: 1-line block ×3, first 2 shown]
	v_mul_f64 v[112:113], v[106:107], s[46:47]
	v_accvgpr_write_b32 a88, v38
	v_fma_f64 v[38:39], s[10:11], v[166:167], v[38:39]
	v_add_f64 v[86:87], v[38:39], v[86:87]
	v_fma_f64 v[38:39], v[168:169], s[10:11], -v[112:113]
	v_accvgpr_write_b32 a92, v112
	v_add_f64 v[88:89], v[38:39], v[88:89]
	v_mul_f64 v[38:39], v[108:109], s[38:39]
	v_accvgpr_write_b32 a93, v113
	v_mul_f64 v[214:215], v[106:107], s[38:39]
	v_fma_f64 v[112:113], s[2:3], v[166:167], v[38:39]
	v_add_f64 v[90:91], v[112:113], v[90:91]
	v_fma_f64 v[112:113], v[168:169], s[2:3], -v[214:215]
	v_add_f64 v[100:101], v[14:15], v[100:101]
	v_add_f64 v[92:93], v[112:113], v[92:93]
	v_mul_f64 v[112:113], v[108:109], s[42:43]
	v_add_f64 v[100:101], v[114:115], v[100:101]
	v_fma_f64 v[114:115], v[166:167], s[18:19], -v[112:113]
	v_add_f64 v[96:97], v[114:115], v[96:97]
	v_mul_f64 v[114:115], v[106:107], s[42:43]
	v_fmac_f64_e32 v[112:113], s[18:19], v[166:167]
	v_add_f64 v[94:95], v[112:113], v[94:95]
	v_fma_f64 v[112:113], v[168:169], s[18:19], -v[114:115]
	v_mul_f64 v[108:109], v[108:109], s[36:37]
	v_add_f64 v[98:99], v[112:113], v[98:99]
	v_fma_f64 v[112:113], v[166:167], s[22:23], -v[108:109]
	v_mul_f64 v[106:107], v[106:107], s[36:37]
	v_fmac_f64_e32 v[108:109], s[22:23], v[166:167]
	v_add_f64 v[102:103], v[112:113], v[102:103]
	v_fma_f64 v[112:113], s[22:23], v[168:169], v[106:107]
	v_add_f64 v[2:3], v[108:109], v[2:3]
	v_add_f64 v[108:109], v[30:31], -v[66:67]
	v_add_f64 v[104:105], v[112:113], v[104:105]
	v_fma_f64 v[106:107], v[168:169], s[22:23], -v[106:107]
	v_mul_f64 v[112:113], v[108:109], s[42:43]
	v_add_f64 v[0:1], v[106:107], v[0:1]
	v_add_f64 v[192:193], v[28:29], v[64:65]
	v_add_f64 v[106:107], v[28:29], -v[64:65]
	v_accvgpr_write_b32 a70, v112
	v_fma_f64 v[116:117], s[18:19], v[168:169], v[114:115]
	v_add_f64 v[194:195], v[30:31], v[66:67]
	v_mul_f64 v[114:115], v[106:107], s[42:43]
	v_accvgpr_write_b32 a71, v113
	v_fma_f64 v[112:113], s[18:19], v[192:193], v[112:113]
	v_add_f64 v[4:5], v[112:113], v[4:5]
	v_fma_f64 v[112:113], v[194:195], s[18:19], -v[114:115]
	v_add_f64 v[6:7], v[112:113], v[6:7]
	v_mul_f64 v[112:113], v[108:109], s[40:41]
	v_accvgpr_write_b32 a72, v114
	v_accvgpr_write_b32 a78, v112
	;; [unrolled: 1-line block ×3, first 2 shown]
	v_mul_f64 v[114:115], v[106:107], s[40:41]
	v_accvgpr_write_b32 a79, v113
	v_fma_f64 v[112:113], s[24:25], v[192:193], v[112:113]
	v_add_f64 v[8:9], v[112:113], v[8:9]
	v_fma_f64 v[112:113], v[194:195], s[24:25], -v[114:115]
	v_add_f64 v[10:11], v[112:113], v[10:11]
	v_mul_f64 v[112:113], v[108:109], s[50:51]
	v_accvgpr_write_b32 a90, v112
	v_mul_f64 v[210:211], v[106:107], s[50:51]
	v_accvgpr_write_b32 a91, v113
	v_fma_f64 v[112:113], s[16:17], v[192:193], v[112:113]
	v_add_f64 v[110:111], v[112:113], v[110:111]
	v_fma_f64 v[112:113], v[194:195], s[16:17], -v[210:211]
	v_mul_f64 v[216:217], v[108:109], s[48:49]
	v_add_f64 v[80:81], v[112:113], v[80:81]
	v_mul_f64 v[220:221], v[106:107], s[48:49]
	v_fma_f64 v[112:113], s[2:3], v[192:193], v[216:217]
	v_add_f64 v[82:83], v[112:113], v[82:83]
	v_fma_f64 v[112:113], v[194:195], s[2:3], -v[220:221]
	v_mul_f64 v[226:227], v[108:109], s[34:35]
	v_add_f64 v[84:85], v[112:113], v[84:85]
	v_mul_f64 v[228:229], v[106:107], s[34:35]
	v_fma_f64 v[112:113], s[4:5], v[192:193], v[226:227]
	v_add_f64 v[86:87], v[112:113], v[86:87]
	v_fma_f64 v[112:113], v[194:195], s[4:5], -v[228:229]
	v_mul_f64 v[232:233], v[108:109], s[36:37]
	v_add_f64 v[88:89], v[112:113], v[88:89]
	v_mul_f64 v[236:237], v[106:107], s[36:37]
	v_fma_f64 v[112:113], s[22:23], v[192:193], v[232:233]
	v_add_f64 v[90:91], v[112:113], v[90:91]
	v_fma_f64 v[112:113], v[194:195], s[22:23], -v[236:237]
	s_mov_b32 s53, 0x3fe9895b
	s_mov_b32 s52, s28
	v_accvgpr_write_b32 a82, v114
	v_add_f64 v[92:93], v[112:113], v[92:93]
	v_mul_f64 v[112:113], v[108:109], s[52:53]
	v_accvgpr_write_b32 a83, v115
	v_fma_f64 v[114:115], v[192:193], s[20:21], -v[112:113]
	v_add_f64 v[96:97], v[114:115], v[96:97]
	v_mul_f64 v[114:115], v[106:107], s[52:53]
	v_fmac_f64_e32 v[112:113], s[20:21], v[192:193]
	v_add_f64 v[94:95], v[112:113], v[94:95]
	v_fma_f64 v[112:113], v[194:195], s[20:21], -v[114:115]
	v_mul_f64 v[108:109], v[108:109], s[46:47]
	v_add_f64 v[98:99], v[112:113], v[98:99]
	v_fma_f64 v[112:113], v[192:193], s[10:11], -v[108:109]
	v_mul_f64 v[106:107], v[106:107], s[46:47]
	v_fmac_f64_e32 v[108:109], s[10:11], v[192:193]
	v_add_f64 v[102:103], v[112:113], v[102:103]
	v_fma_f64 v[112:113], s[10:11], v[194:195], v[106:107]
	v_add_f64 v[2:3], v[108:109], v[2:3]
	v_add_f64 v[108:109], v[34:35], -v[62:63]
	v_add_f64 v[104:105], v[112:113], v[104:105]
	v_fma_f64 v[106:107], v[194:195], s[10:11], -v[106:107]
	v_mul_f64 v[112:113], v[108:109], s[26:27]
	v_add_f64 v[0:1], v[106:107], v[0:1]
	v_add_f64 v[222:223], v[32:33], v[60:61]
	v_add_f64 v[106:107], v[32:33], -v[60:61]
	v_accvgpr_write_b32 a94, v112
	v_add_f64 v[100:101], v[116:117], v[100:101]
	v_fma_f64 v[116:117], s[20:21], v[194:195], v[114:115]
	v_add_f64 v[224:225], v[34:35], v[62:63]
	v_mul_f64 v[114:115], v[106:107], s[26:27]
	v_accvgpr_write_b32 a95, v113
	v_fma_f64 v[112:113], s[16:17], v[222:223], v[112:113]
	v_add_f64 v[4:5], v[112:113], v[4:5]
	v_fma_f64 v[112:113], v[224:225], s[16:17], -v[114:115]
	v_mul_f64 v[212:213], v[108:109], s[54:55]
	v_add_f64 v[6:7], v[112:113], v[6:7]
	v_mul_f64 v[218:219], v[106:107], s[54:55]
	v_fma_f64 v[112:113], s[22:23], v[222:223], v[212:213]
	v_add_f64 v[8:9], v[112:113], v[8:9]
	v_fma_f64 v[112:113], v[224:225], s[22:23], -v[218:219]
	v_mul_f64 v[230:231], v[108:109], s[46:47]
	v_add_f64 v[10:11], v[112:113], v[10:11]
	v_mul_f64 v[240:241], v[106:107], s[46:47]
	v_fma_f64 v[112:113], s[10:11], v[222:223], v[230:231]
	v_add_f64 v[110:111], v[112:113], v[110:111]
	v_fma_f64 v[112:113], v[224:225], s[10:11], -v[240:241]
	v_mul_f64 v[244:245], v[108:109], s[34:35]
	v_add_f64 v[80:81], v[112:113], v[80:81]
	v_mul_f64 v[248:249], v[106:107], s[34:35]
	v_fma_f64 v[112:113], s[4:5], v[222:223], v[244:245]
	v_add_f64 v[82:83], v[112:113], v[82:83]
	v_fma_f64 v[112:113], v[224:225], s[4:5], -v[248:249]
	v_mul_f64 v[254:255], v[108:109], s[40:41]
	v_add_f64 v[84:85], v[112:113], v[84:85]
	v_mul_f64 v[208:209], v[106:107], s[40:41]
	v_fma_f64 v[112:113], s[24:25], v[222:223], v[254:255]
	s_mov_b32 s35, 0x3fefdd0d
	s_mov_b32 s34, s42
	v_add_f64 v[86:87], v[112:113], v[86:87]
	v_fma_f64 v[112:113], v[224:225], s[24:25], -v[208:209]
	v_mul_f64 v[124:125], v[108:109], s[34:35]
	v_add_f64 v[88:89], v[112:113], v[88:89]
	v_mul_f64 v[128:129], v[106:107], s[34:35]
	v_fma_f64 v[112:113], s[18:19], v[222:223], v[124:125]
	v_add_f64 v[90:91], v[112:113], v[90:91]
	v_fma_f64 v[112:113], v[224:225], s[18:19], -v[128:129]
	v_accvgpr_write_b32 a96, v114
	v_add_f64 v[92:93], v[112:113], v[92:93]
	v_mul_f64 v[112:113], v[108:109], s[38:39]
	v_accvgpr_write_b32 a97, v115
	v_fma_f64 v[114:115], v[222:223], s[2:3], -v[112:113]
	v_add_f64 v[96:97], v[114:115], v[96:97]
	v_mul_f64 v[114:115], v[106:107], s[38:39]
	v_fmac_f64_e32 v[112:113], s[2:3], v[222:223]
	v_add_f64 v[94:95], v[112:113], v[94:95]
	v_fma_f64 v[112:113], v[224:225], s[2:3], -v[114:115]
	v_mul_f64 v[108:109], v[108:109], s[28:29]
	v_add_f64 v[98:99], v[112:113], v[98:99]
	v_fma_f64 v[112:113], v[222:223], s[20:21], -v[108:109]
	v_mul_f64 v[106:107], v[106:107], s[28:29]
	v_add_f64 v[102:103], v[112:113], v[102:103]
	v_fma_f64 v[112:113], s[20:21], v[224:225], v[106:107]
	v_fma_f64 v[106:107], v[224:225], s[20:21], -v[106:107]
	v_add_f64 v[122:123], v[206:207], -v[58:59]
	v_fmac_f64_e32 v[108:109], s[20:21], v[222:223]
	v_add_f64 v[0:1], v[106:107], v[0:1]
	v_add_f64 v[250:251], v[204:205], v[56:57]
	v_add_f64 v[106:107], v[204:205], -v[56:57]
	v_mul_f64 v[234:235], v[122:123], s[28:29]
	v_add_f64 v[2:3], v[108:109], v[2:3]
	v_add_f64 v[252:253], v[206:207], v[58:59]
	v_mul_f64 v[238:239], v[106:107], s[28:29]
	v_fma_f64 v[108:109], s[20:21], v[250:251], v[234:235]
	v_add_f64 v[4:5], v[108:109], v[4:5]
	v_fma_f64 v[108:109], v[252:253], s[20:21], -v[238:239]
	v_mul_f64 v[242:243], v[122:123], s[50:51]
	v_add_f64 v[6:7], v[108:109], v[6:7]
	v_mul_f64 v[246:247], v[106:107], s[50:51]
	v_fma_f64 v[108:109], s[16:17], v[250:251], v[242:243]
	v_add_f64 v[8:9], v[108:109], v[8:9]
	v_fma_f64 v[108:109], v[252:253], s[16:17], -v[246:247]
	v_mul_f64 v[120:121], v[122:123], s[38:39]
	v_add_f64 v[10:11], v[108:109], v[10:11]
	v_mul_f64 v[134:135], v[106:107], s[38:39]
	v_fma_f64 v[108:109], s[2:3], v[250:251], v[120:121]
	v_add_f64 v[100:101], v[116:117], v[100:101]
	v_fma_f64 v[116:117], s[2:3], v[224:225], v[114:115]
	v_add_f64 v[110:111], v[108:109], v[110:111]
	v_fma_f64 v[108:109], v[252:253], s[2:3], -v[134:135]
	v_mul_f64 v[138:139], v[122:123], s[36:37]
	v_add_f64 v[100:101], v[116:117], v[100:101]
	v_add_f64 v[80:81], v[108:109], v[80:81]
	v_mul_f64 v[116:117], v[106:107], s[36:37]
	v_fma_f64 v[108:109], s[22:23], v[250:251], v[138:139]
	v_add_f64 v[82:83], v[108:109], v[82:83]
	v_fma_f64 v[108:109], v[252:253], s[22:23], -v[116:117]
	v_mul_f64 v[118:119], v[122:123], s[34:35]
	v_add_f64 v[104:105], v[112:113], v[104:105]
	v_add_f64 v[84:85], v[108:109], v[84:85]
	v_mul_f64 v[112:113], v[106:107], s[34:35]
	v_fma_f64 v[108:109], s[18:19], v[250:251], v[118:119]
	v_add_f64 v[86:87], v[108:109], v[86:87]
	v_fma_f64 v[108:109], v[252:253], s[18:19], -v[112:113]
	v_mul_f64 v[114:115], v[122:123], s[44:45]
	v_add_f64 v[88:89], v[108:109], v[88:89]
	v_mul_f64 v[108:109], v[106:107], s[44:45]
	v_fma_f64 v[126:127], s[10:11], v[250:251], v[114:115]
	v_add_f64 v[90:91], v[126:127], v[90:91]
	v_fma_f64 v[126:127], v[252:253], s[10:11], -v[108:109]
	v_add_f64 v[152:153], v[126:127], v[92:93]
	v_mul_f64 v[92:93], v[122:123], s[40:41]
	v_fma_f64 v[126:127], v[250:251], s[24:25], -v[92:93]
	v_add_f64 v[96:97], v[126:127], v[96:97]
	v_mul_f64 v[126:127], v[106:107], s[40:41]
	v_fmac_f64_e32 v[92:93], s[24:25], v[250:251]
	v_add_f64 v[154:155], v[92:93], v[94:95]
	v_fma_f64 v[92:93], v[252:253], s[24:25], -v[126:127]
	v_add_f64 v[98:99], v[92:93], v[98:99]
	v_mul_f64 v[92:93], v[122:123], s[30:31]
	v_fma_f64 v[94:95], v[250:251], s[4:5], -v[92:93]
	v_add_f64 v[102:103], v[94:95], v[102:103]
	v_mul_f64 v[94:95], v[106:107], s[30:31]
	v_fma_f64 v[106:107], s[4:5], v[252:253], v[94:95]
	v_fmac_f64_e32 v[92:93], s[4:5], v[250:251]
	v_add_f64 v[162:163], v[42:43], -v[54:55]
	v_add_f64 v[104:105], v[106:107], v[104:105]
	v_add_f64 v[106:107], v[92:93], v[2:3]
	v_fma_f64 v[2:3], v[252:253], s[4:5], -v[94:95]
	v_add_f64 v[142:143], v[40:41], v[52:53]
	v_add_f64 v[160:161], v[40:41], -v[52:53]
	v_mul_f64 v[122:123], v[162:163], s[36:37]
	v_fma_f64 v[136:137], s[24:25], v[252:253], v[126:127]
	v_add_f64 v[158:159], v[2:3], v[0:1]
	v_add_f64 v[144:145], v[42:43], v[54:55]
	v_mul_f64 v[126:127], v[160:161], s[36:37]
	v_fma_f64 v[0:1], s[22:23], v[142:143], v[122:123]
	v_add_f64 v[100:101], v[136:137], v[100:101]
	v_add_f64 v[170:171], v[0:1], v[4:5]
	v_fma_f64 v[0:1], v[144:145], s[22:23], -v[126:127]
	v_mul_f64 v[136:137], v[162:163], s[30:31]
	v_add_f64 v[178:179], v[0:1], v[6:7]
	v_mul_f64 v[140:141], v[160:161], s[30:31]
	v_fma_f64 v[0:1], s[4:5], v[142:143], v[136:137]
	v_add_f64 v[8:9], v[0:1], v[8:9]
	v_fma_f64 v[0:1], v[144:145], s[4:5], -v[140:141]
	v_mul_f64 v[150:151], v[162:163], s[42:43]
	v_add_f64 v[10:11], v[0:1], v[10:11]
	v_mul_f64 v[156:157], v[160:161], s[42:43]
	v_fma_f64 v[0:1], s[18:19], v[142:143], v[150:151]
	v_add_f64 v[184:185], v[0:1], v[110:111]
	v_fma_f64 v[0:1], v[144:145], s[18:19], -v[156:157]
	v_mul_f64 v[164:165], v[162:163], s[52:53]
	v_add_f64 v[80:81], v[0:1], v[80:81]
	v_fma_f64 v[0:1], s[20:21], v[142:143], v[164:165]
	v_mul_f64 v[110:111], v[162:163], s[40:41]
	v_mul_f64 v[172:173], v[160:161], s[52:53]
	v_add_f64 v[6:7], v[0:1], v[82:83]
	v_mul_f64 v[180:181], v[160:161], s[40:41]
	v_fma_f64 v[82:83], s[24:25], v[142:143], v[110:111]
	v_fma_f64 v[0:1], v[144:145], s[20:21], -v[172:173]
	v_mul_f64 v[174:175], v[162:163], s[38:39]
	v_add_f64 v[92:93], v[82:83], v[90:91]
	v_fma_f64 v[82:83], v[144:145], s[24:25], -v[180:181]
	v_add_f64 v[4:5], v[0:1], v[84:85]
	v_mul_f64 v[176:177], v[160:161], s[38:39]
	v_fma_f64 v[0:1], s[2:3], v[142:143], v[174:175]
	v_add_f64 v[94:95], v[82:83], v[152:153]
	v_mul_f64 v[82:83], v[162:163], s[46:47]
	v_add_f64 v[2:3], v[0:1], v[86:87]
	v_fma_f64 v[0:1], v[144:145], s[2:3], -v[176:177]
	v_fma_f64 v[84:85], v[142:143], s[10:11], -v[82:83]
	v_add_f64 v[0:1], v[0:1], v[88:89]
	v_add_f64 v[88:89], v[84:85], v[96:97]
	v_mul_f64 v[84:85], v[160:161], s[46:47]
	v_fmac_f64_e32 v[82:83], s[10:11], v[142:143]
	v_add_f64 v[96:97], v[82:83], v[154:155]
	v_fma_f64 v[82:83], v[144:145], s[10:11], -v[84:85]
	v_add_f64 v[98:99], v[82:83], v[98:99]
	v_mul_f64 v[82:83], v[162:163], s[26:27]
	v_fma_f64 v[86:87], s[10:11], v[144:145], v[84:85]
	v_fma_f64 v[84:85], v[142:143], s[16:17], -v[82:83]
	v_add_f64 v[90:91], v[86:87], v[100:101]
	v_add_f64 v[100:101], v[84:85], v[102:103]
	v_mul_f64 v[84:85], v[160:161], s[26:27]
	v_fma_f64 v[86:87], s[16:17], v[144:145], v[84:85]
	v_fmac_f64_e32 v[82:83], s[16:17], v[142:143]
	v_add_f64 v[190:191], v[46:47], -v[50:51]
	v_add_f64 v[102:103], v[86:87], v[104:105]
	v_add_f64 v[104:105], v[82:83], v[106:107]
	v_fma_f64 v[82:83], v[144:145], s[16:17], -v[84:85]
	v_add_f64 v[160:161], v[44:45], v[48:49]
	v_add_f64 v[188:189], v[44:45], -v[48:49]
	v_mul_f64 v[152:153], v[190:191], s[40:41]
	v_add_f64 v[106:107], v[82:83], v[158:159]
	v_add_f64 v[162:163], v[46:47], v[50:51]
	v_mul_f64 v[154:155], v[188:189], s[40:41]
	v_fma_f64 v[82:83], s[24:25], v[160:161], v[152:153]
	v_add_f64 v[84:85], v[82:83], v[170:171]
	v_fma_f64 v[82:83], v[162:163], s[24:25], -v[154:155]
	v_mul_f64 v[158:159], v[190:191], s[48:49]
	v_add_f64 v[86:87], v[82:83], v[178:179]
	v_mul_f64 v[170:171], v[188:189], s[48:49]
	v_fma_f64 v[82:83], s[2:3], v[160:161], v[158:159]
	v_accvgpr_write_b32 a10, v84
	v_add_f64 v[82:83], v[82:83], v[8:9]
	v_fma_f64 v[8:9], v[162:163], s[2:3], -v[170:171]
	v_mul_f64 v[178:179], v[190:191], s[36:37]
	v_accvgpr_write_b32 a11, v85
	v_accvgpr_write_b32 a12, v86
	;; [unrolled: 1-line block ×3, first 2 shown]
	v_add_f64 v[84:85], v[8:9], v[10:11]
	v_accvgpr_write_b32 a6, v82
	v_mul_f64 v[182:183], v[188:189], s[36:37]
	v_fma_f64 v[8:9], s[22:23], v[160:161], v[178:179]
	v_accvgpr_write_b32 a7, v83
	v_accvgpr_write_b32 a8, v84
	;; [unrolled: 1-line block ×3, first 2 shown]
	v_add_f64 v[82:83], v[8:9], v[184:185]
	v_fma_f64 v[8:9], v[162:163], s[22:23], -v[182:183]
	v_mul_f64 v[184:185], v[190:191], s[46:47]
	v_add_f64 v[84:85], v[8:9], v[80:81]
	v_mul_f64 v[186:187], v[188:189], s[46:47]
	v_fma_f64 v[8:9], s[10:11], v[160:161], v[184:185]
	v_accvgpr_write_b32 a2, v82
	v_add_f64 v[80:81], v[8:9], v[6:7]
	v_fma_f64 v[6:7], v[162:163], s[10:11], -v[186:187]
	v_mul_f64 v[196:197], v[190:191], s[28:29]
	v_accvgpr_write_b32 a3, v83
	v_accvgpr_write_b32 a4, v84
	;; [unrolled: 1-line block ×3, first 2 shown]
	v_add_f64 v[82:83], v[6:7], v[4:5]
	v_mul_f64 v[198:199], v[188:189], s[28:29]
	v_fma_f64 v[4:5], s[20:21], v[160:161], v[196:197]
	v_add_f64 v[84:85], v[4:5], v[2:3]
	v_fma_f64 v[2:3], v[162:163], s[20:21], -v[198:199]
	v_mul_f64 v[200:201], v[190:191], s[30:31]
	v_add_f64 v[86:87], v[2:3], v[0:1]
	v_mul_f64 v[202:203], v[188:189], s[30:31]
	v_fma_f64 v[0:1], s[4:5], v[160:161], v[200:201]
	v_add_f64 v[92:93], v[0:1], v[92:93]
	v_fma_f64 v[0:1], v[162:163], s[4:5], -v[202:203]
	v_add_f64 v[94:95], v[0:1], v[94:95]
	v_mul_f64 v[0:1], v[190:191], s[26:27]
	v_fma_f64 v[2:3], v[160:161], s[16:17], -v[0:1]
	v_add_f64 v[88:89], v[2:3], v[88:89]
	v_mul_f64 v[2:3], v[188:189], s[26:27]
	v_fmac_f64_e32 v[0:1], s[16:17], v[160:161]
	v_add_f64 v[96:97], v[0:1], v[96:97]
	v_fma_f64 v[0:1], v[162:163], s[16:17], -v[2:3]
	v_add_f64 v[98:99], v[0:1], v[98:99]
	v_mul_f64 v[0:1], v[190:191], s[34:35]
	v_fma_f64 v[4:5], s[16:17], v[162:163], v[2:3]
	v_fma_f64 v[2:3], v[160:161], s[18:19], -v[0:1]
	v_add_f64 v[100:101], v[2:3], v[100:101]
	v_mul_f64 v[2:3], v[188:189], s[34:35]
	v_fmac_f64_e32 v[0:1], s[18:19], v[160:161]
	v_add_f64 v[104:105], v[0:1], v[104:105]
	v_fma_f64 v[0:1], v[162:163], s[18:19], -v[2:3]
	v_add_f64 v[106:107], v[0:1], v[106:107]
	v_accvgpr_read_b32 v0, a1
	v_add_f64 v[90:91], v[4:5], v[90:91]
	v_fma_f64 v[4:5], s[18:19], v[162:163], v[2:3]
	v_mul_lo_u16_e32 v0, 17, v0
	v_add_f64 v[102:103], v[4:5], v[102:103]
	v_accvgpr_write_b32 a14, v0
	s_waitcnt lgkmcnt(0)
	s_barrier
	s_and_saveexec_b64 s[26:27], s[0:1]
	s_cbranch_execz .LBB0_7
; %bb.6:
	v_mul_f64 v[6:7], v[224:225], s[18:19]
	v_accvgpr_read_b32 v10, a80
	v_add_f64 v[6:7], v[128:129], v[6:7]
	v_mul_f64 v[128:129], v[148:149], s[16:17]
	v_accvgpr_read_b32 v11, a81
	v_mul_f64 v[2:3], v[144:145], s[24:25]
	v_add_f64 v[128:129], v[10:11], v[128:129]
	v_accvgpr_read_b32 v10, a54
	v_add_f64 v[2:3], v[180:181], v[2:3]
	v_mul_f64 v[180:181], v[132:133], s[20:21]
	v_accvgpr_read_b32 v11, a55
	v_mul_f64 v[4:5], v[252:253], s[10:11]
	v_add_f64 v[180:181], v[10:11], v[180:181]
	v_add_f64 v[4:5], v[108:109], v[4:5]
	v_mul_f64 v[108:109], v[168:169], s[2:3]
	v_add_f64 v[180:181], v[14:15], v[180:181]
	v_mul_f64 v[8:9], v[194:195], s[22:23]
	v_add_f64 v[108:109], v[214:215], v[108:109]
	v_add_f64 v[128:129], v[128:129], v[180:181]
	;; [unrolled: 1-line block ×6, first 2 shown]
	v_mul_f64 v[8:9], v[250:251], s[10:11]
	v_add_f64 v[8:9], v[8:9], -v[114:115]
	v_mul_f64 v[114:115], v[166:167], s[2:3]
	v_accvgpr_read_b32 v10, a74
	v_add_f64 v[38:39], v[114:115], -v[38:39]
	v_mul_f64 v[114:115], v[146:147], s[16:17]
	v_accvgpr_read_b32 v11, a75
	v_mul_f64 v[108:109], v[222:223], s[18:19]
	v_add_f64 v[114:115], v[114:115], -v[10:11]
	v_accvgpr_read_b32 v10, a48
	v_add_f64 v[108:109], v[108:109], -v[124:125]
	v_mul_f64 v[124:125], v[130:131], s[20:21]
	v_accvgpr_read_b32 v11, a49
	v_add_f64 v[124:125], v[124:125], -v[10:11]
	v_add_f64 v[4:5], v[4:5], v[6:7]
	v_mul_f64 v[6:7], v[142:143], s[24:25]
	v_add_f64 v[124:125], v[12:13], v[124:125]
	v_add_f64 v[6:7], v[6:7], -v[110:111]
	v_mul_f64 v[110:111], v[192:193], s[22:23]
	v_add_f64 v[114:115], v[114:115], v[124:125]
	v_add_f64 v[110:111], v[110:111], -v[232:233]
	v_add_f64 v[38:39], v[38:39], v[114:115]
	v_add_f64 v[38:39], v[110:111], v[38:39]
	;; [unrolled: 1-line block ×4, first 2 shown]
	v_mul_f64 v[4:5], v[160:161], s[4:5]
	v_add_f64 v[8:9], v[8:9], v[38:39]
	v_accvgpr_read_b32 v10, a92
	v_add_f64 v[4:5], v[4:5], -v[200:201]
	v_add_f64 v[6:7], v[6:7], v[8:9]
	v_mul_f64 v[38:39], v[168:169], s[10:11]
	v_accvgpr_read_b32 v11, a93
	v_add_f64 v[108:109], v[4:5], v[6:7]
	v_mul_f64 v[4:5], v[252:253], s[18:19]
	v_add_f64 v[38:39], v[10:11], v[38:39]
	v_accvgpr_read_b32 v10, a66
	v_add_f64 v[4:5], v[112:113], v[4:5]
	v_mul_f64 v[112:113], v[148:149], s[22:23]
	v_accvgpr_read_b32 v11, a67
	v_add_f64 v[112:113], v[10:11], v[112:113]
	v_accvgpr_read_b32 v10, a42
	v_mul_f64 v[114:115], v[132:133], s[16:17]
	v_accvgpr_read_b32 v11, a43
	v_add_f64 v[114:115], v[10:11], v[114:115]
	v_add_f64 v[114:115], v[14:15], v[114:115]
	v_mul_f64 v[8:9], v[194:195], s[4:5]
	v_add_f64 v[112:113], v[112:113], v[114:115]
	v_mul_f64 v[6:7], v[224:225], s[24:25]
	v_add_f64 v[8:9], v[228:229], v[8:9]
	v_add_f64 v[38:39], v[38:39], v[112:113]
	v_accvgpr_read_b32 v10, a88
	v_add_f64 v[6:7], v[208:209], v[6:7]
	v_add_f64 v[8:9], v[8:9], v[38:39]
	v_mul_f64 v[114:115], v[166:167], s[10:11]
	v_accvgpr_read_b32 v11, a89
	v_add_f64 v[6:7], v[6:7], v[8:9]
	v_mul_f64 v[8:9], v[250:251], s[18:19]
	v_add_f64 v[114:115], v[114:115], -v[10:11]
	v_accvgpr_read_b32 v10, a64
	v_add_f64 v[8:9], v[8:9], -v[118:119]
	v_mul_f64 v[118:119], v[146:147], s[22:23]
	v_accvgpr_read_b32 v11, a65
	v_add_f64 v[118:119], v[118:119], -v[10:11]
	v_accvgpr_read_b32 v10, a40
	v_mul_f64 v[124:125], v[130:131], s[16:17]
	v_accvgpr_read_b32 v11, a41
	v_add_f64 v[124:125], v[124:125], -v[10:11]
	v_add_f64 v[124:125], v[12:13], v[124:125]
	v_mul_f64 v[0:1], v[162:163], s[4:5]
	v_mul_f64 v[112:113], v[192:193], s[4:5]
	v_add_f64 v[118:119], v[118:119], v[124:125]
	v_add_f64 v[0:1], v[202:203], v[0:1]
	v_mul_f64 v[38:39], v[222:223], s[24:25]
	v_add_f64 v[112:113], v[112:113], -v[226:227]
	v_add_f64 v[114:115], v[114:115], v[118:119]
	v_add_f64 v[110:111], v[0:1], v[2:3]
	v_mul_f64 v[2:3], v[144:145], s[2:3]
	v_add_f64 v[38:39], v[38:39], -v[254:255]
	v_add_f64 v[112:113], v[112:113], v[114:115]
	v_add_f64 v[2:3], v[176:177], v[2:3]
	v_add_f64 v[4:5], v[4:5], v[6:7]
	v_mul_f64 v[6:7], v[142:143], s[2:3]
	v_add_f64 v[38:39], v[38:39], v[112:113]
	v_add_f64 v[2:3], v[2:3], v[4:5]
	v_mul_f64 v[4:5], v[160:161], s[20:21]
	v_add_f64 v[6:7], v[6:7], -v[174:175]
	v_add_f64 v[8:9], v[8:9], v[38:39]
	v_accvgpr_read_b32 v10, a86
	v_add_f64 v[4:5], v[4:5], -v[196:197]
	v_add_f64 v[6:7], v[6:7], v[8:9]
	v_mul_f64 v[38:39], v[168:169], s[16:17]
	v_accvgpr_read_b32 v11, a87
	v_add_f64 v[112:113], v[4:5], v[6:7]
	v_mul_f64 v[4:5], v[252:253], s[22:23]
	v_add_f64 v[38:39], v[10:11], v[38:39]
	v_accvgpr_read_b32 v10, a62
	v_add_f64 v[4:5], v[116:117], v[4:5]
	v_mul_f64 v[116:117], v[148:149], s[24:25]
	v_accvgpr_read_b32 v11, a63
	v_add_f64 v[116:117], v[10:11], v[116:117]
	v_accvgpr_read_b32 v10, a36
	v_mul_f64 v[118:119], v[132:133], s[18:19]
	v_accvgpr_read_b32 v11, a37
	v_add_f64 v[118:119], v[10:11], v[118:119]
	v_add_f64 v[118:119], v[14:15], v[118:119]
	v_accvgpr_read_b32 v10, a84
	v_add_f64 v[116:117], v[116:117], v[118:119]
	v_mul_f64 v[118:119], v[166:167], s[16:17]
	v_accvgpr_read_b32 v11, a85
	v_add_f64 v[118:119], v[118:119], -v[10:11]
	v_accvgpr_read_b32 v10, a58
	v_mul_f64 v[124:125], v[146:147], s[24:25]
	v_accvgpr_read_b32 v11, a59
	v_add_f64 v[124:125], v[124:125], -v[10:11]
	v_accvgpr_read_b32 v10, a32
	v_mul_f64 v[128:129], v[130:131], s[18:19]
	v_accvgpr_read_b32 v11, a33
	v_add_f64 v[128:129], v[128:129], -v[10:11]
	v_mul_f64 v[8:9], v[194:195], s[2:3]
	v_add_f64 v[128:129], v[12:13], v[128:129]
	v_mul_f64 v[6:7], v[224:225], s[4:5]
	v_add_f64 v[8:9], v[220:221], v[8:9]
	v_add_f64 v[38:39], v[38:39], v[116:117]
	v_mul_f64 v[116:117], v[192:193], s[2:3]
	v_add_f64 v[124:125], v[124:125], v[128:129]
	v_add_f64 v[6:7], v[248:249], v[6:7]
	;; [unrolled: 1-line block ×3, first 2 shown]
	v_mul_f64 v[38:39], v[222:223], s[4:5]
	v_add_f64 v[116:117], v[116:117], -v[216:217]
	v_add_f64 v[118:119], v[118:119], v[124:125]
	v_add_f64 v[6:7], v[6:7], v[8:9]
	v_mul_f64 v[8:9], v[250:251], s[22:23]
	v_add_f64 v[38:39], v[38:39], -v[244:245]
	v_add_f64 v[116:117], v[116:117], v[118:119]
	v_add_f64 v[8:9], v[8:9], -v[138:139]
	v_add_f64 v[38:39], v[38:39], v[116:117]
	v_accvgpr_read_b32 v10, a76
	v_mul_f64 v[0:1], v[162:163], s[20:21]
	v_add_f64 v[8:9], v[8:9], v[38:39]
	v_mul_f64 v[38:39], v[168:169], s[24:25]
	v_accvgpr_read_b32 v11, a77
	v_add_f64 v[0:1], v[198:199], v[0:1]
	v_add_f64 v[38:39], v[10:11], v[38:39]
	v_accvgpr_read_b32 v10, a52
	v_add_f64 v[114:115], v[0:1], v[2:3]
	v_mul_f64 v[2:3], v[144:145], s[20:21]
	v_mul_f64 v[124:125], v[148:149], s[20:21]
	v_accvgpr_read_b32 v11, a53
	v_mul_f64 v[0:1], v[162:163], s[10:11]
	v_add_f64 v[2:3], v[172:173], v[2:3]
	v_add_f64 v[4:5], v[4:5], v[6:7]
	;; [unrolled: 1-line block ×3, first 2 shown]
	v_accvgpr_read_b32 v10, a26
	v_add_f64 v[0:1], v[186:187], v[0:1]
	v_add_f64 v[2:3], v[2:3], v[4:5]
	v_mul_f64 v[128:129], v[132:133], s[4:5]
	v_accvgpr_read_b32 v11, a27
	v_add_f64 v[118:119], v[0:1], v[2:3]
	v_mul_f64 v[2:3], v[144:145], s[18:19]
	v_add_f64 v[128:129], v[10:11], v[128:129]
	v_accvgpr_read_b32 v10, a90
	v_mul_f64 v[6:7], v[142:143], s[20:21]
	v_add_f64 v[2:3], v[156:157], v[2:3]
	v_mul_f64 v[156:157], v[192:193], s[16:17]
	v_accvgpr_read_b32 v11, a91
	v_add_f64 v[6:7], v[6:7], -v[164:165]
	v_add_f64 v[128:129], v[14:15], v[128:129]
	v_add_f64 v[156:157], v[156:157], -v[10:11]
	v_accvgpr_read_b32 v10, a68
	v_add_f64 v[6:7], v[6:7], v[8:9]
	v_mul_f64 v[8:9], v[194:195], s[16:17]
	v_add_f64 v[124:125], v[124:125], v[128:129]
	v_mul_f64 v[164:165], v[166:167], s[24:25]
	v_accvgpr_read_b32 v11, a69
	v_mul_f64 v[4:5], v[160:161], s[10:11]
	v_add_f64 v[8:9], v[210:211], v[8:9]
	v_add_f64 v[38:39], v[38:39], v[124:125]
	v_add_f64 v[164:165], v[164:165], -v[10:11]
	v_accvgpr_read_b32 v10, a44
	v_add_f64 v[4:5], v[4:5], -v[184:185]
	v_add_f64 v[8:9], v[8:9], v[38:39]
	v_mul_f64 v[38:39], v[146:147], s[10:11]
	v_mul_f64 v[138:139], v[146:147], s[18:19]
	v_mul_f64 v[146:147], v[146:147], s[20:21]
	v_accvgpr_read_b32 v11, a45
	v_add_f64 v[116:117], v[4:5], v[6:7]
	v_mul_f64 v[4:5], v[252:253], s[2:3]
	v_add_f64 v[146:147], v[146:147], -v[10:11]
	v_accvgpr_read_b32 v10, a24
	v_add_f64 v[4:5], v[134:135], v[4:5]
	v_mul_f64 v[134:135], v[130:131], s[2:3]
	v_mul_f64 v[124:125], v[130:131], s[10:11]
	v_mul_f64 v[130:131], v[130:131], s[4:5]
	v_accvgpr_read_b32 v11, a25
	v_add_f64 v[130:131], v[130:131], -v[10:11]
	v_accvgpr_read_b32 v10, a82
	v_mul_f64 v[180:181], v[194:195], s[24:25]
	v_accvgpr_read_b32 v11, a83
	v_mul_f64 v[6:7], v[224:225], s[10:11]
	v_add_f64 v[180:181], v[10:11], v[180:181]
	v_accvgpr_read_b32 v10, a60
	v_add_f64 v[6:7], v[240:241], v[6:7]
	v_mul_f64 v[174:175], v[168:169], s[4:5]
	v_mul_f64 v[168:169], v[168:169], s[20:21]
	v_accvgpr_read_b32 v11, a61
	v_add_f64 v[6:7], v[6:7], v[8:9]
	v_add_f64 v[168:169], v[10:11], v[168:169]
	v_accvgpr_read_b32 v10, a38
	v_mul_f64 v[8:9], v[148:149], s[10:11]
	v_add_f64 v[4:5], v[4:5], v[6:7]
	v_mul_f64 v[6:7], v[148:149], s[18:19]
	v_mul_f64 v[148:149], v[142:143], s[18:19]
	v_add_f64 v[130:131], v[12:13], v[130:131]
	v_accvgpr_read_b32 v11, a39
	v_add_f64 v[148:149], v[148:149], -v[150:151]
	v_mul_f64 v[150:151], v[250:251], s[2:3]
	v_add_f64 v[130:131], v[146:147], v[130:131]
	v_add_f64 v[6:7], v[10:11], v[6:7]
	v_accvgpr_read_b32 v10, a22
	v_mul_f64 v[128:129], v[132:133], s[2:3]
	v_mul_f64 v[132:133], v[132:133], s[10:11]
	v_add_f64 v[120:121], v[150:151], -v[120:121]
	v_mul_f64 v[150:151], v[222:223], s[10:11]
	v_add_f64 v[130:131], v[164:165], v[130:131]
	v_accvgpr_read_b32 v11, a23
	v_add_f64 v[150:151], v[150:151], -v[230:231]
	v_add_f64 v[130:131], v[156:157], v[130:131]
	v_add_f64 v[132:133], v[10:11], v[132:133]
	;; [unrolled: 1-line block ×4, first 2 shown]
	v_mul_f64 v[0:1], v[162:163], s[22:23]
	v_add_f64 v[2:3], v[2:3], v[4:5]
	v_mul_f64 v[4:5], v[160:161], s[22:23]
	v_add_f64 v[120:121], v[120:121], v[130:131]
	v_add_f64 v[6:7], v[6:7], v[132:133]
	;; [unrolled: 1-line block ×3, first 2 shown]
	v_add_f64 v[4:5], v[4:5], -v[178:179]
	v_mul_f64 v[184:185], v[224:225], s[22:23]
	v_add_f64 v[120:121], v[148:149], v[120:121]
	v_add_f64 v[6:7], v[168:169], v[6:7]
	v_mul_f64 v[188:189], v[252:253], s[16:17]
	v_mul_f64 v[148:149], v[142:143], s[22:23]
	v_add_f64 v[2:3], v[0:1], v[2:3]
	v_add_f64 v[0:1], v[4:5], v[120:121]
	v_mul_f64 v[4:5], v[142:143], s[4:5]
	v_mul_f64 v[142:143], v[144:145], s[4:5]
	v_add_f64 v[184:185], v[218:219], v[184:185]
	v_add_f64 v[6:7], v[180:181], v[6:7]
	v_accvgpr_read_b32 v10, a78
	v_mul_f64 v[178:179], v[192:193], s[24:25]
	v_add_f64 v[140:141], v[140:141], v[142:143]
	v_add_f64 v[142:143], v[246:247], v[188:189]
	;; [unrolled: 1-line block ×3, first 2 shown]
	v_accvgpr_read_b32 v11, a79
	v_mul_f64 v[120:121], v[144:145], s[22:23]
	v_mul_f64 v[144:145], v[162:163], s[2:3]
	v_add_f64 v[6:7], v[142:143], v[6:7]
	v_add_f64 v[142:143], v[178:179], -v[10:11]
	v_accvgpr_read_b32 v10, a56
	v_mul_f64 v[172:173], v[166:167], s[4:5]
	v_mul_f64 v[166:167], v[166:167], s[20:21]
	v_add_f64 v[144:145], v[170:171], v[144:145]
	v_add_f64 v[6:7], v[140:141], v[6:7]
	v_accvgpr_read_b32 v11, a57
	v_add_f64 v[6:7], v[144:145], v[6:7]
	v_add_f64 v[144:145], v[166:167], -v[10:11]
	v_accvgpr_read_b32 v10, a34
	v_accvgpr_read_b32 v11, a35
	v_add_f64 v[138:139], v[138:139], -v[10:11]
	v_accvgpr_read_b32 v10, a20
	v_accvgpr_read_b32 v11, a21
	v_add_f64 v[124:125], v[124:125], -v[10:11]
	v_add_f64 v[124:125], v[12:13], v[124:125]
	v_add_f64 v[124:125], v[138:139], v[124:125]
	v_mul_f64 v[182:183], v[222:223], s[22:23]
	v_add_f64 v[124:125], v[144:145], v[124:125]
	v_mul_f64 v[186:187], v[250:251], s[16:17]
	v_add_f64 v[140:141], v[182:183], -v[212:213]
	v_add_f64 v[124:125], v[142:143], v[124:125]
	v_accvgpr_read_b32 v10, a96
	v_mul_f64 v[156:157], v[224:225], s[16:17]
	v_mul_f64 v[130:131], v[252:253], s[20:21]
	v_add_f64 v[4:5], v[4:5], -v[136:137]
	v_add_f64 v[136:137], v[186:187], -v[242:243]
	v_add_f64 v[124:125], v[140:141], v[124:125]
	v_accvgpr_read_b32 v11, a97
	v_mul_f64 v[170:171], v[160:161], s[24:25]
	v_mul_f64 v[160:161], v[160:161], s[2:3]
	v_add_f64 v[124:125], v[136:137], v[124:125]
	v_add_f64 v[120:121], v[126:127], v[120:121]
	;; [unrolled: 1-line block ×4, first 2 shown]
	v_accvgpr_read_b32 v10, a72
	v_mul_f64 v[146:147], v[194:195], s[18:19]
	v_add_f64 v[132:133], v[160:161], -v[158:159]
	v_add_f64 v[4:5], v[4:5], v[124:125]
	v_accvgpr_read_b32 v11, a73
	v_add_f64 v[4:5], v[132:133], v[4:5]
	v_add_f64 v[132:133], v[10:11], v[146:147]
	v_accvgpr_read_b32 v10, a50
	v_accvgpr_read_b32 v11, a51
	v_add_f64 v[136:137], v[10:11], v[174:175]
	v_accvgpr_read_b32 v10, a30
	v_accvgpr_read_b32 v11, a31
	;; [unrolled: 3-line block ×3, first 2 shown]
	v_add_f64 v[128:129], v[10:11], v[128:129]
	v_add_f64 v[128:129], v[14:15], v[128:129]
	;; [unrolled: 1-line block ×5, first 2 shown]
	v_accvgpr_read_b32 v10, a94
	v_mul_f64 v[164:165], v[222:223], s[16:17]
	v_add_f64 v[8:9], v[130:131], v[8:9]
	v_accvgpr_read_b32 v11, a95
	v_add_f64 v[8:9], v[126:127], v[8:9]
	v_add_f64 v[126:127], v[164:165], -v[10:11]
	v_accvgpr_read_b32 v10, a70
	v_mul_f64 v[176:177], v[192:193], s[18:19]
	v_accvgpr_read_b32 v11, a71
	v_add_f64 v[128:129], v[176:177], -v[10:11]
	v_accvgpr_read_b32 v10, a46
	v_accvgpr_read_b32 v11, a47
	v_add_f64 v[130:131], v[172:173], -v[10:11]
	v_accvgpr_read_b32 v10, a28
	;; [unrolled: 3-line block ×3, first 2 shown]
	v_accvgpr_read_b32 v11, a17
	v_add_f64 v[132:133], v[134:135], -v[10:11]
	v_add_f64 v[132:133], v[12:13], v[132:133]
	v_add_f64 v[38:39], v[38:39], v[132:133]
	;; [unrolled: 1-line block ×3, first 2 shown]
	v_mul_f64 v[150:151], v[250:251], s[20:21]
	v_add_f64 v[38:39], v[128:129], v[38:39]
	v_mul_f64 v[162:163], v[162:163], s[24:25]
	v_add_f64 v[8:9], v[120:121], v[8:9]
	v_add_f64 v[120:121], v[148:149], -v[122:123]
	v_add_f64 v[122:123], v[150:151], -v[234:235]
	v_add_f64 v[38:39], v[126:127], v[38:39]
	v_add_f64 v[124:125], v[154:155], v[162:163]
	v_add_f64 v[38:39], v[122:123], v[38:39]
	v_add_f64 v[124:125], v[124:125], v[8:9]
	v_add_f64 v[8:9], v[170:171], -v[152:153]
	v_add_f64 v[38:39], v[120:121], v[38:39]
	v_add_f64 v[122:123], v[8:9], v[38:39]
	;; [unrolled: 1-line block ×34, first 2 shown]
	v_accvgpr_read_b32 v8, a14
	v_lshlrev_b32_e32 v8, 4, v8
	ds_write_b128 v8, v[12:15]
	ds_write_b128 v8, v[122:125] offset:16
	ds_write_b128 v8, v[4:7] offset:32
	;; [unrolled: 1-line block ×16, first 2 shown]
.LBB0_7:
	s_or_b64 exec, exec, s[26:27]
	s_waitcnt lgkmcnt(0)
	s_barrier
	ds_read_b128 v[60:63], v36
	ds_read_b128 v[112:115], v36 offset:2992
	ds_read_b128 v[108:111], v36 offset:5984
	;; [unrolled: 1-line block ×6, first 2 shown]
	s_movk_i32 s2, 0x44
	v_accvgpr_read_b32 v184, a1
	v_cmp_gt_u16_e64 s[2:3], s2, v184
	s_and_saveexec_b64 s[4:5], s[2:3]
	s_cbranch_execz .LBB0_9
; %bb.8:
	ds_read_b128 v[88:91], v36 offset:1904
	ds_read_b128 v[100:103], v36 offset:4896
	;; [unrolled: 1-line block ×7, first 2 shown]
.LBB0_9:
	s_or_b64 exec, exec, s[4:5]
	s_movk_i32 s4, 0xf1
	v_mul_lo_u16_sdwa v0, v184, s4 dst_sel:DWORD dst_unused:UNUSED_PAD src0_sel:BYTE_0 src1_sel:DWORD
	v_lshrrev_b16_e32 v10, 12, v0
	v_mul_lo_u16_e32 v0, 17, v10
	v_sub_u16_e32 v0, v184, v0
	v_and_b32_e32 v11, 0xff, v0
	v_mul_u32_u24_e32 v0, 6, v11
	v_lshlrev_b32_e32 v0, 4, v0
	global_load_dwordx4 v[44:47], v0, s[8:9] offset:16
	global_load_dwordx4 v[136:139], v0, s[8:9]
	global_load_dwordx4 v[40:43], v0, s[8:9] offset:48
	global_load_dwordx4 v[132:135], v0, s[8:9] offset:32
	;; [unrolled: 1-line block ×4, first 2 shown]
	v_add_u16_e32 v0, 0x77, v184
	v_mul_lo_u16_sdwa v1, v0, s4 dst_sel:DWORD dst_unused:UNUSED_PAD src0_sel:BYTE_0 src1_sel:DWORD
	v_lshrrev_b16_e32 v185, 12, v1
	v_mul_lo_u16_e32 v1, 17, v185
	v_sub_u16_e32 v0, v0, v1
	v_and_b32_e32 v194, 0xff, v0
	v_mul_u32_u24_e32 v0, 6, v194
	v_lshlrev_b32_e32 v0, 4, v0
	global_load_dwordx4 v[200:203], v0, s[8:9]
	global_load_dwordx4 v[56:59], v0, s[8:9] offset:16
	global_load_dwordx4 v[52:55], v0, s[8:9] offset:32
	;; [unrolled: 1-line block ×5, first 2 shown]
	s_mov_b32 s20, 0xe976ee23
	s_mov_b32 s16, 0x37e14327
	;; [unrolled: 1-line block ×20, first 2 shown]
	s_load_dwordx4 s[4:7], s[6:7], 0x0
	s_waitcnt lgkmcnt(0)
	s_barrier
	s_waitcnt vmcnt(11)
	v_mul_f64 v[4:5], v[110:111], v[46:47]
	s_waitcnt vmcnt(10)
	v_mul_f64 v[0:1], v[114:115], v[138:139]
	v_mul_f64 v[2:3], v[112:113], v[138:139]
	;; [unrolled: 1-line block ×3, first 2 shown]
	s_waitcnt vmcnt(7)
	v_mul_f64 v[22:23], v[66:67], v[142:143]
	s_waitcnt vmcnt(6)
	v_mul_f64 v[18:19], v[70:71], v[146:147]
	v_mul_f64 v[8:9], v[78:79], v[134:135]
	;; [unrolled: 1-line block ×5, first 2 shown]
	s_waitcnt vmcnt(5)
	v_mul_f64 v[26:27], v[102:103], v[202:203]
	s_waitcnt vmcnt(4)
	v_mul_f64 v[32:33], v[106:107], v[58:59]
	v_fma_f64 v[0:1], v[112:113], v[136:137], -v[0:1]
	v_fma_f64 v[4:5], v[108:109], v[44:45], -v[4:5]
	;; [unrolled: 1-line block ×4, first 2 shown]
	v_mul_f64 v[12:13], v[76:77], v[134:135]
	v_mul_f64 v[16:17], v[72:73], v[42:43]
	;; [unrolled: 1-line block ×3, first 2 shown]
	s_waitcnt vmcnt(3)
	v_mul_f64 v[34:35], v[98:99], v[54:55]
	v_fmac_f64_e32 v[2:3], v[114:115], v[136:137]
	v_fmac_f64_e32 v[6:7], v[110:111], v[44:45]
	v_fma_f64 v[8:9], v[76:77], v[132:133], -v[8:9]
	v_fma_f64 v[14:15], v[72:73], v[40:41], -v[14:15]
	v_fmac_f64_e32 v[20:21], v[70:71], v[144:145]
	v_fmac_f64_e32 v[24:25], v[66:67], v[140:141]
	v_fma_f64 v[26:27], v[100:101], v[200:201], -v[26:27]
	v_fma_f64 v[100:101], v[104:105], v[56:57], -v[32:33]
	v_add_f64 v[32:33], v[0:1], v[22:23]
	v_add_f64 v[0:1], v[0:1], -v[22:23]
	v_add_f64 v[22:23], v[4:5], v[18:19]
	v_mul_f64 v[118:119], v[96:97], v[54:55]
	v_fmac_f64_e32 v[12:13], v[78:79], v[132:133]
	v_fmac_f64_e32 v[16:17], v[74:75], v[40:41]
	v_fma_f64 v[96:97], v[96:97], v[52:53], -v[34:35]
	v_add_f64 v[34:35], v[2:3], v[24:25]
	v_add_f64 v[2:3], v[2:3], -v[24:25]
	v_add_f64 v[24:25], v[6:7], v[20:21]
	v_add_f64 v[4:5], v[4:5], -v[18:19]
	;; [unrolled: 2-line block ×6, first 2 shown]
	v_add_f64 v[68:69], v[32:33], -v[18:19]
	v_add_f64 v[32:33], v[8:9], v[4:5]
	v_add_f64 v[14:15], v[18:19], v[14:15]
	s_waitcnt vmcnt(1)
	v_mul_f64 v[126:127], v[84:85], v[206:207]
	v_add_f64 v[66:67], v[24:25], -v[34:35]
	v_add_f64 v[70:71], v[34:35], -v[20:21]
	v_add_f64 v[34:35], v[12:13], v[6:7]
	v_add_f64 v[72:73], v[8:9], -v[4:5]
	v_add_f64 v[8:9], v[0:1], -v[8:9]
	;; [unrolled: 1-line block ×3, first 2 shown]
	v_add_f64 v[16:17], v[20:21], v[16:17]
	v_add_f64 v[0:1], v[32:33], v[0:1]
	;; [unrolled: 1-line block ×3, first 2 shown]
	v_mul_f64 v[122:123], v[92:93], v[50:51]
	v_mul_f64 v[124:125], v[86:87], v[206:207]
	v_fmac_f64_e32 v[126:127], v[86:87], v[204:205]
	v_add_f64 v[22:23], v[18:19], -v[22:23]
	v_add_f64 v[24:25], v[20:21], -v[24:25]
	;; [unrolled: 1-line block ×5, first 2 shown]
	v_add_f64 v[2:3], v[34:35], v[2:3]
	v_add_f64 v[34:35], v[62:63], v[16:17]
	v_mul_f64 v[86:87], v[72:73], s[20:21]
	v_pk_mov_b32 v[72:73], v[32:33], v[32:33] op_sel:[0,1]
	v_mul_f64 v[120:121], v[94:95], v[50:51]
	v_fmac_f64_e32 v[122:123], v[94:95], v[48:49]
	v_fma_f64 v[94:95], v[84:85], v[204:205], -v[124:125]
	v_mul_f64 v[18:19], v[68:69], s[16:17]
	v_mul_f64 v[20:21], v[70:71], s[16:17]
	;; [unrolled: 1-line block ×7, first 2 shown]
	v_fmac_f64_e32 v[72:73], s[22:23], v[14:15]
	v_pk_mov_b32 v[14:15], v[34:35], v[34:35] op_sel:[0,1]
	v_mul_f64 v[116:117], v[104:105], v[58:59]
	s_waitcnt vmcnt(0)
	v_mul_f64 v[128:129], v[82:83], v[30:31]
	v_mul_f64 v[130:131], v[80:81], v[30:31]
	v_fmac_f64_e32 v[14:15], s[22:23], v[16:17]
	v_fma_f64 v[16:17], v[64:65], s[24:25], -v[60:61]
	v_fma_f64 v[60:61], v[66:67], s[24:25], -v[62:63]
	;; [unrolled: 1-line block ×3, first 2 shown]
	v_fmac_f64_e32 v[18:19], s[10:11], v[22:23]
	v_fma_f64 v[22:23], v[66:67], s[26:27], -v[20:21]
	v_fmac_f64_e32 v[20:21], s[10:11], v[24:25]
	v_fma_f64 v[4:5], v[4:5], s[18:19], -v[86:87]
	v_fmac_f64_e32 v[86:87], s[28:29], v[8:9]
	v_fma_f64 v[6:7], v[6:7], s[18:19], -v[84:85]
	v_fmac_f64_e32 v[84:85], s[28:29], v[12:13]
	v_fma_f64 v[8:9], v[8:9], s[34:35], -v[68:69]
	v_fma_f64 v[12:13], v[12:13], s[34:35], -v[70:71]
	v_fmac_f64_e32 v[38:39], v[102:103], v[200:201]
	v_fmac_f64_e32 v[116:117], v[106:107], v[56:57]
	;; [unrolled: 1-line block ×3, first 2 shown]
	v_fma_f64 v[98:99], v[80:81], v[28:29], -v[128:129]
	v_fmac_f64_e32 v[130:131], v[82:83], v[28:29]
	v_add_f64 v[20:21], v[20:21], v[14:15]
	v_add_f64 v[24:25], v[60:61], v[14:15]
	;; [unrolled: 1-line block ×4, first 2 shown]
	v_fmac_f64_e32 v[8:9], s[30:31], v[0:1]
	v_fmac_f64_e32 v[12:13], s[30:31], v[2:3]
	v_fma_f64 v[92:93], v[92:93], v[48:49], -v[120:121]
	v_add_f64 v[18:19], v[18:19], v[72:73]
	v_add_f64 v[16:17], v[16:17], v[72:73]
	v_fmac_f64_e32 v[86:87], s[30:31], v[0:1]
	v_fmac_f64_e32 v[84:85], s[30:31], v[2:3]
	;; [unrolled: 1-line block ×4, first 2 shown]
	v_add_f64 v[68:69], v[12:13], v[60:61]
	v_add_f64 v[70:71], v[14:15], -v[8:9]
	v_add_f64 v[80:81], v[60:61], -v[12:13]
	v_add_f64 v[82:83], v[8:9], v[14:15]
	v_add_f64 v[0:1], v[26:27], v[98:99]
	;; [unrolled: 1-line block ×6, first 2 shown]
	v_add_f64 v[66:67], v[20:21], -v[86:87]
	v_add_f64 v[72:73], v[16:17], -v[6:7]
	v_add_f64 v[74:75], v[4:5], v[24:25]
	v_add_f64 v[76:77], v[6:7], v[16:17]
	v_add_f64 v[78:79], v[24:25], -v[4:5]
	v_add_f64 v[84:85], v[18:19], -v[84:85]
	v_add_f64 v[86:87], v[86:87], v[20:21]
	v_add_f64 v[4:5], v[26:27], -v[98:99]
	v_add_f64 v[6:7], v[38:39], -v[130:131]
	v_add_f64 v[14:15], v[100:101], -v[94:95]
	v_add_f64 v[16:17], v[116:117], -v[126:127]
	v_add_f64 v[18:19], v[96:97], v[92:93]
	v_add_f64 v[20:21], v[118:119], v[122:123]
	v_add_f64 v[22:23], v[92:93], -v[96:97]
	v_add_f64 v[24:25], v[122:123], -v[118:119]
	v_add_f64 v[26:27], v[8:9], v[0:1]
	v_add_f64 v[38:39], v[12:13], v[2:3]
	v_add_f64 v[92:93], v[8:9], -v[0:1]
	v_add_f64 v[94:95], v[12:13], -v[2:3]
	;; [unrolled: 1-line block ×6, first 2 shown]
	v_add_f64 v[60:61], v[22:23], v[14:15]
	v_add_f64 v[62:63], v[24:25], v[16:17]
	v_add_f64 v[96:97], v[22:23], -v[14:15]
	v_add_f64 v[98:99], v[24:25], -v[16:17]
	v_add_f64 v[14:15], v[14:15], -v[4:5]
	v_add_f64 v[16:17], v[16:17], -v[6:7]
	v_add_f64 v[18:19], v[18:19], v[26:27]
	v_add_f64 v[20:21], v[20:21], v[38:39]
	v_add_f64 v[22:23], v[4:5], -v[22:23]
	v_add_f64 v[24:25], v[6:7], -v[24:25]
	v_add_f64 v[38:39], v[60:61], v[4:5]
	v_add_f64 v[100:101], v[62:63], v[6:7]
	;; [unrolled: 1-line block ×4, first 2 shown]
	v_mul_f64 v[4:5], v[0:1], s[16:17]
	v_mul_f64 v[6:7], v[2:3], s[16:17]
	;; [unrolled: 1-line block ×8, first 2 shown]
	v_fma_f64 v[98:99], s[22:23], v[18:19], v[60:61]
	v_fma_f64 v[102:103], s[22:23], v[20:21], v[62:63]
	;; [unrolled: 1-line block ×3, first 2 shown]
	v_fma_f64 v[20:21], v[92:93], s[24:25], -v[2:3]
	v_fma_f64 v[26:27], v[94:95], s[24:25], -v[26:27]
	;; [unrolled: 1-line block ×4, first 2 shown]
	v_fmac_f64_e32 v[6:7], s[10:11], v[12:13]
	v_fma_f64 v[2:3], s[28:29], v[22:23], v[88:89]
	v_fma_f64 v[18:19], v[14:15], s[18:19], -v[88:89]
	v_fma_f64 v[14:15], v[16:17], s[18:19], -v[0:1]
	v_fmac_f64_e32 v[0:1], s[28:29], v[24:25]
	v_fma_f64 v[16:17], v[22:23], s[34:35], -v[90:91]
	v_fma_f64 v[12:13], v[24:25], s[34:35], -v[96:97]
	v_accvgpr_write_b32 a44, v136
	v_accvgpr_write_b32 a36, v44
	;; [unrolled: 1-line block ×9, first 2 shown]
	v_add_f64 v[4:5], v[8:9], v[98:99]
	v_add_f64 v[6:7], v[6:7], v[102:103]
	;; [unrolled: 1-line block ×6, first 2 shown]
	v_fmac_f64_e32 v[2:3], s[30:31], v[38:39]
	v_fmac_f64_e32 v[0:1], s[30:31], v[100:101]
	v_fmac_f64_e32 v[18:19], s[30:31], v[38:39]
	v_fmac_f64_e32 v[14:15], s[30:31], v[100:101]
	v_fmac_f64_e32 v[16:17], s[30:31], v[38:39]
	v_fmac_f64_e32 v[12:13], s[30:31], v[100:101]
	v_mul_u32_u24_e32 v8, 0x77, v10
	v_accvgpr_write_b32 a45, v137
	v_accvgpr_write_b32 a46, v138
	v_accvgpr_write_b32 a47, v139
	v_accvgpr_write_b32 a37, v45
	v_accvgpr_write_b32 a38, v46
	v_accvgpr_write_b32 a39, v47
	v_accvgpr_write_b32 a41, v133
	v_accvgpr_write_b32 a42, v134
	v_accvgpr_write_b32 a43, v135
	v_accvgpr_write_b32 a33, v41
	v_accvgpr_write_b32 a34, v42
	v_accvgpr_write_b32 a35, v43
	v_accvgpr_write_b32 a53, v145
	v_accvgpr_write_b32 a54, v146
	v_accvgpr_write_b32 a55, v147
	v_accvgpr_write_b32 a49, v141
	v_accvgpr_write_b32 a50, v142
	v_accvgpr_write_b32 a51, v143
	v_accvgpr_write_b32 a74, v58
	v_accvgpr_write_b32 a73, v57
	v_accvgpr_write_b32 a72, v56
	v_accvgpr_write_b32 a78, v54
	v_accvgpr_write_b32 a77, v53
	v_accvgpr_write_b32 a76, v52
	v_accvgpr_write_b32 a29, v29
	v_accvgpr_write_b32 a30, v30
	v_accvgpr_write_b32 a31, v31
	v_add_f64 v[100:101], v[14:15], v[22:23]
	v_add_f64 v[102:103], v[26:27], -v[18:19]
	v_add_f64 v[104:105], v[20:21], -v[12:13]
	v_add_f64 v[106:107], v[16:17], v[24:25]
	v_add_f64 v[108:109], v[4:5], -v[0:1]
	v_add_f64 v[110:111], v[2:3], v[6:7]
	v_add_lshl_u32 v37, v8, v11, 4
	ds_write_b128 v37, v[32:35]
	ds_write_b128 v37, v[64:67] offset:272
	ds_write_b128 v37, v[68:71] offset:544
	;; [unrolled: 1-line block ×6, first 2 shown]
	s_mov_b64 s[10:11], exec
	v_accvgpr_read_b32 v31, a5
	v_accvgpr_read_b32 v43, a9
	;; [unrolled: 1-line block ×3, first 2 shown]
	s_and_b64 s[16:17], s[10:11], s[2:3]
	v_accvgpr_read_b32 v30, a4
	v_accvgpr_read_b32 v29, a3
	v_accvgpr_read_b32 v28, a2
	v_accvgpr_read_b32 v42, a8
	v_accvgpr_read_b32 v41, a7
	v_accvgpr_read_b32 v40, a6
	v_accvgpr_read_b32 v46, a12
	v_accvgpr_read_b32 v45, a11
	v_accvgpr_read_b32 v44, a10
	s_mov_b64 exec, s[16:17]
	s_cbranch_execz .LBB0_11
; %bb.10:
	v_add_f64 v[0:1], v[0:1], v[4:5]
	v_mul_u32_u24_e32 v4, 0x77, v185
	v_add_lshl_u32 v4, v4, v194, 4
	v_add_f64 v[34:35], v[18:19], v[26:27]
	v_add_f64 v[32:33], v[22:23], -v[14:15]
	v_add_f64 v[14:15], v[24:25], -v[16:17]
	v_add_f64 v[12:13], v[12:13], v[20:21]
	v_add_f64 v[2:3], v[6:7], -v[2:3]
	ds_write_b128 v4, v[60:63]
	ds_write_b128 v4, v[0:3] offset:272
	ds_write_b128 v4, v[12:15] offset:544
	;; [unrolled: 1-line block ×6, first 2 shown]
.LBB0_11:
	s_or_b64 exec, exec, s[10:11]
	s_movk_i32 s10, 0xa0
	v_pk_mov_b32 v[0:1], s[8:9], s[8:9] op_sel:[0,1]
	v_mad_u64_u32 v[0:1], s[8:9], v184, s10, v[0:1]
	s_waitcnt lgkmcnt(0)
	s_barrier
	global_load_dwordx4 v[164:167], v[0:1], off offset:1632
	global_load_dwordx4 v[70:73], v[0:1], off offset:1648
	global_load_dwordx4 v[66:69], v[0:1], off offset:1664
	global_load_dwordx4 v[62:65], v[0:1], off offset:1680
	global_load_dwordx4 v[88:91], v[0:1], off offset:1696
	global_load_dwordx4 v[84:87], v[0:1], off offset:1712
	global_load_dwordx4 v[80:83], v[0:1], off offset:1728
	global_load_dwordx4 v[76:79], v[0:1], off offset:1744
	global_load_dwordx4 v[96:99], v[0:1], off offset:1760
	global_load_dwordx4 v[92:95], v[0:1], off offset:1776
	ds_read_b128 v[20:23], v36
	ds_read_b128 v[4:7], v36 offset:1904
	ds_read_b128 v[16:19], v36 offset:3808
	;; [unrolled: 1-line block ×10, first 2 shown]
	s_mov_b32 s20, 0xf8bb580b
	s_mov_b32 s18, 0x43842ef
	s_mov_b32 s26, 0xbb3a28a1
	s_mov_b32 s30, 0xfd768dbf
	s_mov_b32 s21, 0xbfe14ced
	s_mov_b32 s22, 0x8764f0ba
	s_mov_b32 s17, 0xbfed1bb4
	s_mov_b32 s16, 0x8eee2c13
	s_mov_b32 s8, 0xd9c712b6
	s_mov_b32 s19, 0xbfefac9e
	s_mov_b32 s10, 0x640f44db
	s_mov_b32 s27, 0xbfe82f19
	s_mov_b32 s24, 0x7f775887
	s_mov_b32 s31, 0xbfd207e7
	s_mov_b32 s28, 0x9bcd5057
	s_mov_b32 s23, 0x3feaeb8c
	s_mov_b32 s9, 0x3fda9628
	s_mov_b32 s11, 0xbfc2375f
	s_mov_b32 s25, 0xbfe4f49e
	s_mov_b32 s29, 0xbfeeb42a
	s_mov_b32 s39, 0x3fd207e7
	s_mov_b32 s38, s30
	s_mov_b32 s37, 0x3fefac9e
	s_mov_b32 s36, s18
	s_mov_b32 s35, 0x3fe14ced
	s_mov_b32 s34, s20
	s_waitcnt vmcnt(9) lgkmcnt(9)
	v_mul_f64 v[8:9], v[6:7], v[166:167]
	v_mul_f64 v[38:39], v[4:5], v[166:167]
	s_waitcnt vmcnt(8) lgkmcnt(8)
	v_mul_f64 v[136:137], v[18:19], v[72:73]
	v_fma_f64 v[8:9], v[4:5], v[164:165], -v[8:9]
	s_waitcnt vmcnt(5) lgkmcnt(5)
	v_mul_f64 v[146:147], v[114:115], v[90:91]
	v_mul_f64 v[138:139], v[16:17], v[72:73]
	;; [unrolled: 1-line block ×4, first 2 shown]
	v_fmac_f64_e32 v[38:39], v[6:7], v[164:165]
	v_fma_f64 v[136:137], v[16:17], v[70:71], -v[136:137]
	v_fma_f64 v[4:5], v[112:113], v[88:89], -v[146:147]
	v_add_f64 v[112:113], v[20:21], v[8:9]
	v_mul_f64 v[142:143], v[24:25], v[68:69]
	v_mul_f64 v[144:145], v[34:35], v[64:65]
	v_fmac_f64_e32 v[138:139], v[18:19], v[70:71]
	v_fma_f64 v[24:25], v[24:25], v[66:67], -v[140:141]
	v_fmac_f64_e32 v[0:1], v[114:115], v[88:89]
	v_add_f64 v[114:115], v[22:23], v[38:39]
	v_add_f64 v[112:113], v[112:113], v[136:137]
	v_mul_f64 v[12:13], v[32:33], v[64:65]
	v_fmac_f64_e32 v[142:143], v[26:27], v[66:67]
	v_fma_f64 v[16:17], v[32:33], v[62:63], -v[144:145]
	v_add_f64 v[114:115], v[114:115], v[138:139]
	v_add_f64 v[112:113], v[112:113], v[24:25]
	s_waitcnt vmcnt(4) lgkmcnt(4)
	v_mul_f64 v[148:149], v[118:119], v[86:87]
	v_fmac_f64_e32 v[12:13], v[34:35], v[62:63]
	v_add_f64 v[114:115], v[114:115], v[142:143]
	v_add_f64 v[112:113], v[112:113], v[16:17]
	v_mul_f64 v[2:3], v[116:117], v[86:87]
	s_waitcnt vmcnt(3) lgkmcnt(3)
	v_mul_f64 v[150:151], v[122:123], v[82:83]
	v_fma_f64 v[6:7], v[116:117], v[84:85], -v[148:149]
	v_add_f64 v[114:115], v[114:115], v[12:13]
	v_add_f64 v[112:113], v[112:113], v[4:5]
	v_mul_f64 v[14:15], v[120:121], v[82:83]
	s_waitcnt vmcnt(2) lgkmcnt(2)
	v_mul_f64 v[152:153], v[126:127], v[78:79]
	v_fmac_f64_e32 v[2:3], v[118:119], v[84:85]
	v_fma_f64 v[18:19], v[120:121], v[80:81], -v[150:151]
	v_add_f64 v[114:115], v[114:115], v[0:1]
	v_add_f64 v[112:113], v[112:113], v[6:7]
	v_mul_f64 v[154:155], v[124:125], v[78:79]
	s_waitcnt vmcnt(1) lgkmcnt(1)
	v_mul_f64 v[156:157], v[130:131], v[98:99]
	s_waitcnt vmcnt(0) lgkmcnt(0)
	v_mul_f64 v[160:161], v[134:135], v[94:95]
	v_mul_f64 v[162:163], v[132:133], v[94:95]
	v_fmac_f64_e32 v[14:15], v[122:123], v[80:81]
	v_fma_f64 v[26:27], v[124:125], v[76:77], -v[152:153]
	v_add_f64 v[114:115], v[114:115], v[2:3]
	v_add_f64 v[112:113], v[112:113], v[18:19]
	v_mul_f64 v[158:159], v[128:129], v[98:99]
	v_fmac_f64_e32 v[154:155], v[126:127], v[76:77]
	v_fma_f64 v[32:33], v[128:129], v[96:97], -v[156:157]
	v_fma_f64 v[34:35], v[132:133], v[92:93], -v[160:161]
	v_fmac_f64_e32 v[162:163], v[134:135], v[92:93]
	v_add_f64 v[114:115], v[114:115], v[14:15]
	v_add_f64 v[112:113], v[112:113], v[26:27]
	v_fmac_f64_e32 v[158:159], v[130:131], v[96:97]
	v_add_f64 v[116:117], v[8:9], v[34:35]
	v_add_f64 v[118:119], v[38:39], v[162:163]
	v_add_f64 v[8:9], v[8:9], -v[34:35]
	v_add_f64 v[38:39], v[38:39], -v[162:163]
	v_add_f64 v[114:115], v[114:115], v[154:155]
	v_add_f64 v[112:113], v[112:113], v[32:33]
	;; [unrolled: 1-line block ×4, first 2 shown]
	v_mul_f64 v[34:35], v[38:39], s[20:21]
	v_mul_f64 v[122:123], v[8:9], s[20:21]
	;; [unrolled: 1-line block ×10, first 2 shown]
	v_add_f64 v[114:115], v[114:115], v[162:163]
	v_fma_f64 v[120:121], v[116:117], s[22:23], -v[34:35]
	v_fma_f64 v[124:125], s[22:23], v[118:119], v[122:123]
	v_fmac_f64_e32 v[34:35], s[22:23], v[116:117]
	v_fma_f64 v[122:123], v[118:119], s[22:23], -v[122:123]
	v_fma_f64 v[128:129], v[116:117], s[8:9], -v[126:127]
	v_fma_f64 v[132:133], s[8:9], v[118:119], v[130:131]
	v_fmac_f64_e32 v[126:127], s[8:9], v[116:117]
	v_fma_f64 v[130:131], v[118:119], s[8:9], -v[130:131]
	;; [unrolled: 4-line block ×5, first 2 shown]
	v_add_f64 v[116:117], v[138:139], -v[158:159]
	v_add_f64 v[124:125], v[22:23], v[124:125]
	v_add_f64 v[122:123], v[22:23], v[122:123]
	v_add_f64 v[132:133], v[22:23], v[132:133]
	v_add_f64 v[130:131], v[22:23], v[130:131]
	v_add_f64 v[146:147], v[22:23], v[146:147]
	v_add_f64 v[144:145], v[22:23], v[144:145]
	v_add_f64 v[156:157], v[22:23], v[156:157]
	v_add_f64 v[152:153], v[22:23], v[152:153]
	v_add_f64 v[162:163], v[22:23], v[162:163]
	v_add_f64 v[8:9], v[22:23], v[8:9]
	v_add_f64 v[22:23], v[136:137], v[32:33]
	v_mul_f64 v[118:119], v[116:117], s[16:17]
	v_add_f64 v[120:121], v[20:21], v[120:121]
	v_add_f64 v[32:33], v[136:137], -v[32:33]
	v_fma_f64 v[136:137], v[22:23], s[8:9], -v[118:119]
	v_add_f64 v[34:35], v[20:21], v[34:35]
	v_add_f64 v[128:129], v[20:21], v[128:129]
	;; [unrolled: 1-line block ×11, first 2 shown]
	v_mul_f64 v[136:137], v[32:33], s[16:17]
	v_fmac_f64_e32 v[118:119], s[8:9], v[22:23]
	v_add_f64 v[34:35], v[118:119], v[34:35]
	v_fma_f64 v[118:119], v[38:39], s[8:9], -v[136:137]
	v_add_f64 v[118:119], v[118:119], v[122:123]
	v_mul_f64 v[122:123], v[116:117], s[26:27]
	v_fma_f64 v[138:139], s[8:9], v[38:39], v[136:137]
	v_fma_f64 v[136:137], v[22:23], s[24:25], -v[122:123]
	v_add_f64 v[128:129], v[136:137], v[128:129]
	v_mul_f64 v[136:137], v[32:33], s[26:27]
	v_fmac_f64_e32 v[122:123], s[24:25], v[22:23]
	v_add_f64 v[122:123], v[122:123], v[126:127]
	v_fma_f64 v[126:127], v[38:39], s[24:25], -v[136:137]
	v_add_f64 v[124:125], v[138:139], v[124:125]
	v_fma_f64 v[138:139], s[24:25], v[38:39], v[136:137]
	v_add_f64 v[126:127], v[126:127], v[130:131]
	v_mul_f64 v[130:131], v[116:117], s[38:39]
	v_add_f64 v[132:133], v[138:139], v[132:133]
	v_fma_f64 v[136:137], v[22:23], s[28:29], -v[130:131]
	v_mul_f64 v[138:139], v[32:33], s[38:39]
	v_fmac_f64_e32 v[130:131], s[28:29], v[22:23]
	v_add_f64 v[136:137], v[136:137], v[140:141]
	v_fma_f64 v[140:141], s[28:29], v[38:39], v[138:139]
	v_add_f64 v[130:131], v[130:131], v[134:135]
	v_fma_f64 v[134:135], v[38:39], s[28:29], -v[138:139]
	v_mul_f64 v[138:139], v[116:117], s[36:37]
	v_add_f64 v[140:141], v[140:141], v[146:147]
	v_add_f64 v[134:135], v[134:135], v[144:145]
	v_fma_f64 v[144:145], v[22:23], s[10:11], -v[138:139]
	v_mul_f64 v[146:147], v[32:33], s[36:37]
	v_fmac_f64_e32 v[138:139], s[10:11], v[22:23]
	v_mul_f64 v[116:117], v[116:117], s[34:35]
	v_mul_f64 v[32:33], v[32:33], s[34:35]
	v_add_f64 v[138:139], v[138:139], v[148:149]
	v_fma_f64 v[148:149], v[22:23], s[22:23], -v[116:117]
	v_fmac_f64_e32 v[116:117], s[22:23], v[22:23]
	v_fma_f64 v[22:23], v[38:39], s[22:23], -v[32:33]
	v_add_f64 v[144:145], v[144:145], v[150:151]
	v_fma_f64 v[150:151], s[10:11], v[38:39], v[146:147]
	v_fma_f64 v[146:147], v[38:39], s[10:11], -v[146:147]
	v_add_f64 v[8:9], v[22:23], v[8:9]
	v_add_f64 v[22:23], v[24:25], v[26:27]
	v_add_f64 v[24:25], v[24:25], -v[26:27]
	v_add_f64 v[26:27], v[142:143], -v[154:155]
	v_add_f64 v[146:147], v[146:147], v[152:153]
	v_fma_f64 v[152:153], s[22:23], v[38:39], v[32:33]
	v_mul_f64 v[38:39], v[26:27], s[18:19]
	v_add_f64 v[20:21], v[116:117], v[20:21]
	v_fma_f64 v[116:117], v[22:23], s[10:11], -v[38:39]
	v_add_f64 v[32:33], v[142:143], v[154:155]
	v_add_f64 v[116:117], v[116:117], v[120:121]
	v_mul_f64 v[120:121], v[24:25], s[18:19]
	v_fmac_f64_e32 v[38:39], s[10:11], v[22:23]
	v_add_f64 v[34:35], v[38:39], v[34:35]
	v_fma_f64 v[38:39], v[32:33], s[10:11], -v[120:121]
	v_add_f64 v[38:39], v[38:39], v[118:119]
	v_mul_f64 v[118:119], v[26:27], s[38:39]
	v_fma_f64 v[142:143], s[10:11], v[32:33], v[120:121]
	v_fma_f64 v[120:121], v[22:23], s[28:29], -v[118:119]
	v_add_f64 v[120:121], v[120:121], v[128:129]
	v_mul_f64 v[128:129], v[24:25], s[38:39]
	v_fmac_f64_e32 v[118:119], s[28:29], v[22:23]
	v_add_f64 v[118:119], v[118:119], v[122:123]
	v_fma_f64 v[122:123], v[32:33], s[28:29], -v[128:129]
	s_mov_b32 s17, 0x3fed1bb4
	v_add_f64 v[122:123], v[122:123], v[126:127]
	v_mul_f64 v[126:127], v[26:27], s[16:17]
	v_add_f64 v[124:125], v[142:143], v[124:125]
	v_fma_f64 v[142:143], s[28:29], v[32:33], v[128:129]
	v_fma_f64 v[128:129], v[22:23], s[8:9], -v[126:127]
	v_add_f64 v[128:129], v[128:129], v[136:137]
	v_mul_f64 v[136:137], v[24:25], s[16:17]
	v_fmac_f64_e32 v[126:127], s[8:9], v[22:23]
	v_add_f64 v[126:127], v[126:127], v[130:131]
	v_fma_f64 v[130:131], v[32:33], s[8:9], -v[136:137]
	v_add_f64 v[132:133], v[142:143], v[132:133]
	v_fma_f64 v[142:143], s[8:9], v[32:33], v[136:137]
	v_add_f64 v[130:131], v[130:131], v[134:135]
	v_mul_f64 v[134:135], v[26:27], s[20:21]
	v_add_f64 v[140:141], v[142:143], v[140:141]
	v_fma_f64 v[136:137], v[22:23], s[22:23], -v[134:135]
	v_mul_f64 v[142:143], v[24:25], s[20:21]
	v_fmac_f64_e32 v[134:135], s[22:23], v[22:23]
	v_add_f64 v[134:135], v[134:135], v[138:139]
	v_fma_f64 v[138:139], v[32:33], s[22:23], -v[142:143]
	v_mul_f64 v[26:27], v[26:27], s[26:27]
	v_mul_f64 v[24:25], v[24:25], s[26:27]
	v_add_f64 v[136:137], v[136:137], v[144:145]
	v_fma_f64 v[144:145], s[22:23], v[32:33], v[142:143]
	v_add_f64 v[138:139], v[138:139], v[146:147]
	v_fma_f64 v[142:143], v[22:23], s[24:25], -v[26:27]
	v_fma_f64 v[146:147], s[24:25], v[32:33], v[24:25]
	v_fmac_f64_e32 v[26:27], s[24:25], v[22:23]
	v_fma_f64 v[22:23], v[32:33], s[24:25], -v[24:25]
	v_add_f64 v[24:25], v[12:13], v[14:15]
	v_add_f64 v[12:13], v[12:13], -v[14:15]
	v_add_f64 v[8:9], v[22:23], v[8:9]
	v_add_f64 v[22:23], v[16:17], v[18:19]
	v_add_f64 v[16:17], v[16:17], -v[18:19]
	v_mul_f64 v[14:15], v[12:13], s[26:27]
	v_add_f64 v[20:21], v[26:27], v[20:21]
	v_fma_f64 v[18:19], v[22:23], s[24:25], -v[14:15]
	v_mul_f64 v[26:27], v[16:17], s[26:27]
	v_fmac_f64_e32 v[14:15], s[24:25], v[22:23]
	v_fma_f64 v[32:33], s[24:25], v[24:25], v[26:27]
	v_add_f64 v[14:15], v[14:15], v[34:35]
	v_fma_f64 v[26:27], v[24:25], s[24:25], -v[26:27]
	v_mul_f64 v[34:35], v[12:13], s[36:37]
	v_add_f64 v[18:19], v[18:19], v[116:117]
	v_add_f64 v[26:27], v[26:27], v[38:39]
	v_fma_f64 v[38:39], v[22:23], s[10:11], -v[34:35]
	v_mul_f64 v[116:117], v[16:17], s[36:37]
	v_add_f64 v[148:149], v[148:149], v[160:161]
	v_add_f64 v[38:39], v[38:39], v[120:121]
	v_fma_f64 v[120:121], s[10:11], v[24:25], v[116:117]
	v_fma_f64 v[116:117], v[24:25], s[10:11], -v[116:117]
	v_add_f64 v[142:143], v[142:143], v[148:149]
	v_fmac_f64_e32 v[34:35], s[10:11], v[22:23]
	v_add_f64 v[148:149], v[116:117], v[122:123]
	v_mul_f64 v[116:117], v[12:13], s[20:21]
	v_add_f64 v[34:35], v[34:35], v[118:119]
	v_fma_f64 v[118:119], v[22:23], s[22:23], -v[116:117]
	v_add_f64 v[150:151], v[150:151], v[156:157]
	v_add_f64 v[128:129], v[118:119], v[128:129]
	v_mul_f64 v[118:119], v[16:17], s[20:21]
	v_fmac_f64_e32 v[116:117], s[22:23], v[22:23]
	v_add_f64 v[144:145], v[144:145], v[150:151]
	v_add_f64 v[150:151], v[116:117], v[126:127]
	v_fma_f64 v[116:117], v[24:25], s[22:23], -v[118:119]
	v_add_f64 v[130:131], v[116:117], v[130:131]
	v_mul_f64 v[116:117], v[12:13], s[30:31]
	v_add_f64 v[152:153], v[152:153], v[162:163]
	v_add_f64 v[32:33], v[32:33], v[124:125]
	;; [unrolled: 1-line block ×3, first 2 shown]
	v_fma_f64 v[120:121], s[22:23], v[24:25], v[118:119]
	v_fma_f64 v[118:119], v[22:23], s[28:29], -v[116:117]
	v_add_f64 v[146:147], v[146:147], v[152:153]
	v_add_f64 v[152:153], v[118:119], v[136:137]
	v_mul_f64 v[118:119], v[16:17], s[30:31]
	v_fmac_f64_e32 v[116:117], s[28:29], v[22:23]
	v_add_f64 v[156:157], v[116:117], v[134:135]
	v_fma_f64 v[116:117], v[24:25], s[28:29], -v[118:119]
	v_mul_f64 v[12:13], v[12:13], s[16:17]
	v_add_f64 v[158:159], v[116:117], v[138:139]
	v_fma_f64 v[116:117], v[22:23], s[8:9], -v[12:13]
	v_mul_f64 v[16:17], v[16:17], s[16:17]
	v_fmac_f64_e32 v[12:13], s[8:9], v[22:23]
	v_add_f64 v[142:143], v[116:117], v[142:143]
	v_fma_f64 v[116:117], s[8:9], v[24:25], v[16:17]
	v_add_f64 v[12:13], v[12:13], v[20:21]
	v_fma_f64 v[16:17], v[24:25], s[8:9], -v[16:17]
	v_add_f64 v[20:21], v[0:1], v[2:3]
	v_add_f64 v[0:1], v[0:1], -v[2:3]
	v_add_f64 v[8:9], v[16:17], v[8:9]
	v_add_f64 v[16:17], v[4:5], v[6:7]
	v_mul_f64 v[2:3], v[0:1], s[30:31]
	v_add_f64 v[4:5], v[4:5], -v[6:7]
	v_fma_f64 v[6:7], v[16:17], s[28:29], -v[2:3]
	v_add_f64 v[160:161], v[116:117], v[146:147]
	v_add_f64 v[116:117], v[6:7], v[18:19]
	v_mul_f64 v[6:7], v[4:5], s[30:31]
	v_fmac_f64_e32 v[2:3], s[28:29], v[16:17]
	v_add_f64 v[132:133], v[2:3], v[14:15]
	v_fma_f64 v[2:3], v[20:21], s[28:29], -v[6:7]
	v_add_f64 v[134:135], v[2:3], v[26:27]
	v_mul_f64 v[2:3], v[0:1], s[34:35]
	v_add_f64 v[140:141], v[120:121], v[140:141]
	v_fma_f64 v[120:121], s[28:29], v[24:25], v[118:119]
	v_fma_f64 v[18:19], s[28:29], v[20:21], v[6:7]
	v_fma_f64 v[6:7], v[16:17], s[22:23], -v[2:3]
	v_add_f64 v[154:155], v[120:121], v[144:145]
	v_add_f64 v[120:121], v[6:7], v[38:39]
	v_mul_f64 v[6:7], v[4:5], s[34:35]
	v_fmac_f64_e32 v[2:3], s[22:23], v[16:17]
	v_add_f64 v[136:137], v[2:3], v[34:35]
	v_fma_f64 v[2:3], v[20:21], s[22:23], -v[6:7]
	v_add_f64 v[138:139], v[2:3], v[148:149]
	v_mul_f64 v[2:3], v[0:1], s[26:27]
	v_fma_f64 v[14:15], s[22:23], v[20:21], v[6:7]
	v_fma_f64 v[6:7], v[16:17], s[24:25], -v[2:3]
	v_add_f64 v[122:123], v[14:15], v[124:125]
	v_add_f64 v[124:125], v[6:7], v[128:129]
	v_mul_f64 v[6:7], v[4:5], s[26:27]
	v_fmac_f64_e32 v[2:3], s[24:25], v[16:17]
	v_add_f64 v[144:145], v[2:3], v[150:151]
	v_fma_f64 v[2:3], v[20:21], s[24:25], -v[6:7]
	v_add_f64 v[146:147], v[2:3], v[130:131]
	v_mul_f64 v[2:3], v[0:1], s[16:17]
	v_fma_f64 v[14:15], s[24:25], v[20:21], v[6:7]
	v_fma_f64 v[6:7], v[16:17], s[8:9], -v[2:3]
	v_add_f64 v[128:129], v[6:7], v[152:153]
	v_mul_f64 v[6:7], v[4:5], s[16:17]
	v_fmac_f64_e32 v[2:3], s[8:9], v[16:17]
	v_add_f64 v[148:149], v[2:3], v[156:157]
	v_fma_f64 v[2:3], v[20:21], s[8:9], -v[6:7]
	v_mul_f64 v[0:1], v[0:1], s[18:19]
	v_add_f64 v[150:151], v[2:3], v[158:159]
	v_fma_f64 v[2:3], v[16:17], s[10:11], -v[0:1]
	v_add_f64 v[126:127], v[14:15], v[140:141]
	v_add_f64 v[140:141], v[2:3], v[142:143]
	v_mul_f64 v[2:3], v[4:5], s[18:19]
	v_fmac_f64_e32 v[0:1], s[10:11], v[16:17]
	v_accvgpr_write_b32 a68, v164
	v_fma_f64 v[14:15], s[8:9], v[20:21], v[6:7]
	v_fma_f64 v[4:5], s[10:11], v[20:21], v[2:3]
	v_add_f64 v[152:153], v[0:1], v[12:13]
	v_fma_f64 v[0:1], v[20:21], s[10:11], -v[2:3]
	v_accvgpr_write_b32 a69, v165
	v_accvgpr_write_b32 a70, v166
	;; [unrolled: 1-line block ×3, first 2 shown]
	v_add_f64 v[118:119], v[18:19], v[32:33]
	v_add_f64 v[130:131], v[14:15], v[154:155]
	;; [unrolled: 1-line block ×4, first 2 shown]
	ds_write_b128 v36, v[112:115]
	ds_write_b128 v36, v[116:119] offset:1904
	ds_write_b128 v36, v[120:123] offset:3808
	;; [unrolled: 1-line block ×10, first 2 shown]
	s_waitcnt lgkmcnt(0)
	s_barrier
	s_and_saveexec_b64 s[8:9], s[0:1]
	s_cbranch_execz .LBB0_13
; %bb.12:
	v_add_co_u32_e32 v0, vcc, s12, v36
	v_mov_b32_e32 v1, s13
	v_addc_co_u32_e32 v1, vcc, 0, v1, vcc
	v_add_co_u32_e32 v16, vcc, 0x51d0, v0
	v_addc_co_u32_e32 v17, vcc, 0, v1, vcc
	v_add_co_u32_e32 v6, vcc, 0x5000, v0
	v_addc_co_u32_e32 v7, vcc, 0, v1, vcc
	global_load_dwordx4 v[6:9], v[6:7], off offset:464
	ds_read_b128 v[2:5], v36
	ds_read_b128 v[156:159], v36 offset:19712
	s_movk_i32 s10, 0x6000
	s_waitcnt vmcnt(0) lgkmcnt(1)
	v_mul_f64 v[12:13], v[4:5], v[8:9]
	v_mul_f64 v[14:15], v[2:3], v[8:9]
	v_fma_f64 v[12:13], v[2:3], v[6:7], -v[12:13]
	v_fmac_f64_e32 v[14:15], v[4:5], v[6:7]
	global_load_dwordx4 v[6:9], v[16:17], off offset:1232
	ds_read_b128 v[2:5], v36 offset:1232
	ds_write_b128 v36, v[12:15]
	s_waitcnt vmcnt(0) lgkmcnt(1)
	v_mul_f64 v[12:13], v[4:5], v[8:9]
	v_mul_f64 v[14:15], v[2:3], v[8:9]
	v_fma_f64 v[12:13], v[2:3], v[6:7], -v[12:13]
	v_fmac_f64_e32 v[14:15], v[4:5], v[6:7]
	global_load_dwordx4 v[6:9], v[16:17], off offset:2464
	ds_read_b128 v[2:5], v36 offset:2464
	ds_write_b128 v36, v[12:15] offset:1232
	s_waitcnt vmcnt(0) lgkmcnt(1)
	v_mul_f64 v[12:13], v[4:5], v[8:9]
	v_mul_f64 v[14:15], v[2:3], v[8:9]
	v_fma_f64 v[12:13], v[2:3], v[6:7], -v[12:13]
	v_fmac_f64_e32 v[14:15], v[4:5], v[6:7]
	global_load_dwordx4 v[6:9], v[16:17], off offset:3696
	ds_read_b128 v[2:5], v36 offset:3696
	v_add_co_u32_e32 v16, vcc, s10, v0
	ds_write_b128 v36, v[12:15] offset:2464
	v_addc_co_u32_e32 v17, vcc, 0, v1, vcc
	s_movk_i32 s10, 0x7000
	s_waitcnt vmcnt(0) lgkmcnt(1)
	v_mul_f64 v[12:13], v[4:5], v[8:9]
	v_mul_f64 v[14:15], v[2:3], v[8:9]
	v_fma_f64 v[12:13], v[2:3], v[6:7], -v[12:13]
	v_fmac_f64_e32 v[14:15], v[4:5], v[6:7]
	global_load_dwordx4 v[6:9], v[16:17], off offset:1296
	ds_read_b128 v[2:5], v36 offset:4928
	ds_write_b128 v36, v[12:15] offset:3696
	s_waitcnt vmcnt(0) lgkmcnt(1)
	v_mul_f64 v[12:13], v[4:5], v[8:9]
	v_mul_f64 v[14:15], v[2:3], v[8:9]
	v_fma_f64 v[12:13], v[2:3], v[6:7], -v[12:13]
	v_fmac_f64_e32 v[14:15], v[4:5], v[6:7]
	global_load_dwordx4 v[6:9], v[16:17], off offset:2528
	ds_read_b128 v[2:5], v36 offset:6160
	ds_write_b128 v36, v[12:15] offset:4928
	s_waitcnt vmcnt(0) lgkmcnt(1)
	v_mul_f64 v[12:13], v[4:5], v[8:9]
	v_mul_f64 v[14:15], v[2:3], v[8:9]
	v_fma_f64 v[12:13], v[2:3], v[6:7], -v[12:13]
	v_fmac_f64_e32 v[14:15], v[4:5], v[6:7]
	global_load_dwordx4 v[6:9], v[16:17], off offset:3760
	ds_read_b128 v[2:5], v36 offset:7392
	v_add_co_u32_e32 v16, vcc, s10, v0
	ds_write_b128 v36, v[12:15] offset:6160
	v_addc_co_u32_e32 v17, vcc, 0, v1, vcc
	s_mov_b32 s10, 0x8000
	s_waitcnt vmcnt(0) lgkmcnt(1)
	v_mul_f64 v[12:13], v[4:5], v[8:9]
	v_mul_f64 v[14:15], v[2:3], v[8:9]
	v_fma_f64 v[12:13], v[2:3], v[6:7], -v[12:13]
	v_fmac_f64_e32 v[14:15], v[4:5], v[6:7]
	global_load_dwordx4 v[6:9], v[16:17], off offset:896
	ds_read_b128 v[2:5], v36 offset:8624
	ds_write_b128 v36, v[12:15] offset:7392
	s_waitcnt vmcnt(0) lgkmcnt(1)
	v_mul_f64 v[12:13], v[4:5], v[8:9]
	v_mul_f64 v[14:15], v[2:3], v[8:9]
	v_fma_f64 v[12:13], v[2:3], v[6:7], -v[12:13]
	v_fmac_f64_e32 v[14:15], v[4:5], v[6:7]
	global_load_dwordx4 v[6:9], v[16:17], off offset:2128
	ds_read_b128 v[2:5], v36 offset:9856
	ds_write_b128 v36, v[12:15] offset:8624
	s_waitcnt vmcnt(0) lgkmcnt(1)
	v_mul_f64 v[12:13], v[4:5], v[8:9]
	v_mul_f64 v[14:15], v[2:3], v[8:9]
	v_fma_f64 v[12:13], v[2:3], v[6:7], -v[12:13]
	v_fmac_f64_e32 v[14:15], v[4:5], v[6:7]
	global_load_dwordx4 v[6:9], v[16:17], off offset:3360
	ds_read_b128 v[2:5], v36 offset:11088
	v_add_co_u32_e32 v16, vcc, s10, v0
	ds_write_b128 v36, v[12:15] offset:9856
	v_addc_co_u32_e32 v17, vcc, 0, v1, vcc
	s_mov_b32 s10, 0x9000
	s_waitcnt vmcnt(0) lgkmcnt(1)
	v_mul_f64 v[12:13], v[4:5], v[8:9]
	v_mul_f64 v[14:15], v[2:3], v[8:9]
	v_fma_f64 v[12:13], v[2:3], v[6:7], -v[12:13]
	v_fmac_f64_e32 v[14:15], v[4:5], v[6:7]
	global_load_dwordx4 v[6:9], v[16:17], off offset:496
	ds_read_b128 v[2:5], v36 offset:12320
	ds_write_b128 v36, v[12:15] offset:11088
	s_waitcnt vmcnt(0) lgkmcnt(1)
	v_mul_f64 v[12:13], v[4:5], v[8:9]
	v_mul_f64 v[14:15], v[2:3], v[8:9]
	v_fma_f64 v[12:13], v[2:3], v[6:7], -v[12:13]
	v_fmac_f64_e32 v[14:15], v[4:5], v[6:7]
	global_load_dwordx4 v[6:9], v[16:17], off offset:1728
	ds_read_b128 v[2:5], v36 offset:13552
	ds_write_b128 v36, v[12:15] offset:12320
	s_waitcnt vmcnt(0) lgkmcnt(1)
	v_mul_f64 v[12:13], v[4:5], v[8:9]
	v_mul_f64 v[14:15], v[2:3], v[8:9]
	v_fma_f64 v[12:13], v[2:3], v[6:7], -v[12:13]
	v_fmac_f64_e32 v[14:15], v[4:5], v[6:7]
	global_load_dwordx4 v[6:9], v[16:17], off offset:2960
	ds_read_b128 v[2:5], v36 offset:14784
	v_add_co_u32_e32 v16, vcc, s10, v0
	ds_write_b128 v36, v[12:15] offset:13552
	v_addc_co_u32_e32 v17, vcc, 0, v1, vcc
	global_load_dwordx4 v[160:163], v[16:17], off offset:3792
	s_waitcnt vmcnt(1) lgkmcnt(1)
	v_mul_f64 v[12:13], v[4:5], v[8:9]
	v_mul_f64 v[14:15], v[2:3], v[8:9]
	v_fma_f64 v[12:13], v[2:3], v[6:7], -v[12:13]
	v_fmac_f64_e32 v[14:15], v[4:5], v[6:7]
	global_load_dwordx4 v[6:9], v[16:17], off offset:96
	ds_read_b128 v[2:5], v36 offset:16016
	ds_write_b128 v36, v[12:15] offset:14784
	s_waitcnt vmcnt(0) lgkmcnt(1)
	v_mul_f64 v[0:1], v[4:5], v[8:9]
	v_fma_f64 v[0:1], v[2:3], v[6:7], -v[0:1]
	v_mul_f64 v[2:3], v[2:3], v[8:9]
	v_fmac_f64_e32 v[2:3], v[4:5], v[6:7]
	global_load_dwordx4 v[4:7], v[16:17], off offset:1328
	ds_write_b128 v36, v[0:3] offset:16016
	ds_read_b128 v[0:3], v36 offset:17248
	s_waitcnt vmcnt(0) lgkmcnt(0)
	v_mul_f64 v[8:9], v[2:3], v[6:7]
	v_mul_f64 v[14:15], v[0:1], v[6:7]
	v_fma_f64 v[12:13], v[0:1], v[4:5], -v[8:9]
	v_fmac_f64_e32 v[14:15], v[2:3], v[4:5]
	global_load_dwordx4 v[4:7], v[16:17], off offset:2560
	ds_read_b128 v[0:3], v36 offset:18480
	ds_write_b128 v36, v[12:15] offset:17248
	s_waitcnt vmcnt(0) lgkmcnt(1)
	v_mul_f64 v[8:9], v[2:3], v[6:7]
	v_mul_f64 v[14:15], v[0:1], v[6:7]
	v_fma_f64 v[12:13], v[0:1], v[4:5], -v[8:9]
	v_fmac_f64_e32 v[14:15], v[2:3], v[4:5]
	v_mul_f64 v[0:1], v[158:159], v[162:163]
	v_mul_f64 v[2:3], v[156:157], v[162:163]
	v_fma_f64 v[0:1], v[156:157], v[160:161], -v[0:1]
	v_fmac_f64_e32 v[2:3], v[158:159], v[160:161]
	ds_write_b128 v36, v[12:15] offset:18480
	ds_write_b128 v36, v[0:3] offset:19712
.LBB0_13:
	s_or_b64 exec, exec, s[8:9]
	s_waitcnt lgkmcnt(0)
	s_barrier
	s_and_saveexec_b64 s[8:9], s[0:1]
	s_cbranch_execz .LBB0_15
; %bb.14:
	ds_read_b128 v[112:115], v36
	ds_read_b128 v[116:119], v36 offset:1232
	ds_read_b128 v[120:123], v36 offset:2464
	;; [unrolled: 1-line block ×16, first 2 shown]
.LBB0_15:
	s_or_b64 exec, exec, s[8:9]
	s_mov_b32 s16, 0x6ed5f1bb
	s_waitcnt lgkmcnt(0)
	v_add_f64 v[212:213], v[118:119], v[46:47]
	s_mov_b32 s18, 0xeb564b22
	s_mov_b32 s17, 0xbfe348c8
	v_add_f64 v[214:215], v[118:119], -v[46:47]
	s_mov_b32 s8, 0x3259b75e
	s_mov_b32 s19, 0xbfefdd0d
	;; [unrolled: 1-line block ×4, first 2 shown]
	v_mul_f64 v[10:11], v[212:213], s[16:17]
	s_mov_b32 s30, 0xacd6c6b4
	v_add_f64 v[210:211], v[116:117], v[44:45]
	v_add_f64 v[216:217], v[116:117], -v[44:45]
	s_mov_b32 s9, 0x3fb79ee6
	v_mul_f64 v[60:61], v[214:215], s[18:19]
	s_mov_b32 s10, 0xc61f0d01
	s_mov_b32 s23, 0xbfeec746
	;; [unrolled: 1-line block ×3, first 2 shown]
	v_accvgpr_write_b32 a10, v10
	s_mov_b32 s31, 0xbfc7851a
	s_mov_b32 s28, 0x7faef3
	v_add_f64 v[222:223], v[122:123], -v[42:43]
	v_mul_f64 v[74:75], v[212:213], s[8:9]
	v_fma_f64 v[0:1], v[210:211], s[8:9], -v[60:61]
	s_mov_b32 s11, 0xbfd183b1
	v_mul_f64 v[4:5], v[214:215], s[22:23]
	v_accvgpr_write_b32 a11, v11
	v_fma_f64 v[12:13], s[24:25], v[216:217], v[10:11]
	s_mov_b32 s26, 0x4363dd80
	s_mov_b32 s29, 0xbfef7484
	v_add_f64 v[218:219], v[120:121], v[40:41]
	v_add_f64 v[220:221], v[122:123], v[42:43]
	v_mul_f64 v[10:11], v[222:223], s[30:31]
	v_add_f64 v[0:1], v[112:113], v[0:1]
	v_fma_f64 v[2:3], s[18:19], v[216:217], v[74:75]
	v_mul_f64 v[6:7], v[212:213], s[10:11]
	v_accvgpr_write_b32 a13, v5
	s_mov_b32 s27, 0xbfe0d888
	s_mov_b32 s20, 0x910ea3b9
	;; [unrolled: 1-line block ×4, first 2 shown]
	v_add_f64 v[224:225], v[120:121], -v[40:41]
	v_mul_f64 v[38:39], v[220:221], s[28:29]
	v_accvgpr_write_b32 a17, v11
	v_fma_f64 v[34:35], v[218:219], s[28:29], -v[10:11]
	v_add_f64 v[2:3], v[114:115], v[2:3]
	v_accvgpr_write_b32 a12, v4
	v_fma_f64 v[4:5], v[210:211], s[10:11], -v[4:5]
	v_accvgpr_write_b32 a4, v6
	v_mul_f64 v[8:9], v[214:215], s[24:25]
	s_mov_b32 s21, 0xbfeb34fa
	v_accvgpr_write_b32 a16, v10
	v_add_f64 v[0:1], v[34:35], v[0:1]
	v_accvgpr_write_b32 a18, v38
	v_fma_f64 v[34:35], s[30:31], v[224:225], v[38:39]
	v_mul_f64 v[10:11], v[222:223], s[36:37]
	v_add_f64 v[4:5], v[112:113], v[4:5]
	v_accvgpr_write_b32 a5, v7
	v_fma_f64 v[6:7], s[22:23], v[216:217], v[6:7]
	v_accvgpr_write_b32 a6, v8
	v_accvgpr_write_b32 a19, v39
	v_add_f64 v[2:3], v[34:35], v[2:3]
	v_mul_f64 v[38:39], v[220:221], s[20:21]
	v_fma_f64 v[34:35], v[218:219], s[20:21], -v[10:11]
	s_mov_b32 s47, 0x3feec746
	s_mov_b32 s46, s22
	v_add_f64 v[6:7], v[114:115], v[6:7]
	v_accvgpr_write_b32 a7, v9
	v_fma_f64 v[8:9], v[210:211], s[16:17], -v[8:9]
	v_add_f64 v[4:5], v[34:35], v[4:5]
	v_fma_f64 v[34:35], s[36:37], v[224:225], v[38:39]
	v_mul_f64 v[52:53], v[222:223], s[46:47]
	v_add_f64 v[8:9], v[112:113], v[8:9]
	v_add_f64 v[6:7], v[34:35], v[6:7]
	v_mul_f64 v[54:55], v[220:221], s[10:11]
	v_fma_f64 v[34:35], v[218:219], s[10:11], -v[52:53]
	s_mov_b32 s48, 0x7c9e640b
	v_add_f64 v[12:13], v[114:115], v[12:13]
	v_mul_f64 v[14:15], v[214:215], s[26:27]
	v_add_f64 v[8:9], v[34:35], v[8:9]
	v_fma_f64 v[34:35], s[46:47], v[224:225], v[54:55]
	s_mov_b32 s49, 0x3feca52d
	s_mov_b32 s34, 0x2b2883cd
	v_fma_f64 v[16:17], s[20:21], v[210:211], v[14:15]
	v_accvgpr_write_b32 a57, v39
	v_add_f64 v[12:13], v[34:35], v[12:13]
	v_mul_f64 v[34:35], v[222:223], s[48:49]
	s_mov_b32 s35, 0x3fdc86fa
	v_add_f64 v[16:17], v[112:113], v[16:17]
	v_mul_f64 v[18:19], v[212:213], s[20:21]
	v_fma_f64 v[14:15], v[210:211], s[20:21], -v[14:15]
	v_accvgpr_write_b32 a56, v38
	v_fma_f64 v[38:39], s[34:35], v[218:219], v[34:35]
	s_mov_b32 s52, 0x5d8e7cdc
	v_fma_f64 v[20:21], s[36:37], v[216:217], v[18:19]
	v_add_f64 v[14:15], v[112:113], v[14:15]
	v_fmac_f64_e32 v[18:19], s[26:27], v[216:217]
	v_mul_f64 v[22:23], v[214:215], s[30:31]
	v_add_f64 v[16:17], v[38:39], v[16:17]
	v_mul_f64 v[38:39], v[220:221], s[34:35]
	s_mov_b32 s41, 0xbfeca52d
	s_mov_b32 s40, s48
	v_fma_f64 v[34:35], v[218:219], s[34:35], -v[34:35]
	s_mov_b32 s53, 0x3fd71e95
	s_mov_b32 s38, 0x370991
	v_add_f64 v[18:19], v[114:115], v[18:19]
	v_fma_f64 v[24:25], s[28:29], v[210:211], v[22:23]
	v_fma_f64 v[22:23], v[210:211], s[28:29], -v[22:23]
	v_fma_f64 v[156:157], s[40:41], v[224:225], v[38:39]
	v_add_f64 v[14:15], v[34:35], v[14:15]
	v_fmac_f64_e32 v[38:39], s[48:49], v[224:225]
	v_mul_f64 v[34:35], v[222:223], s[52:53]
	s_mov_b32 s39, 0x3fedd6d0
	v_add_f64 v[228:229], v[126:127], -v[30:31]
	v_add_f64 v[24:25], v[112:113], v[24:25]
	v_mul_f64 v[26:27], v[212:213], s[28:29]
	s_mov_b32 s51, 0x3fc7851a
	s_mov_b32 s50, s30
	v_add_f64 v[22:23], v[112:113], v[22:23]
	v_add_f64 v[18:19], v[38:39], v[18:19]
	v_fma_f64 v[38:39], s[38:39], v[218:219], v[34:35]
	v_fma_f64 v[34:35], v[218:219], s[38:39], -v[34:35]
	v_add_f64 v[208:209], v[124:125], v[28:29]
	v_add_f64 v[226:227], v[126:127], v[30:31]
	v_mul_f64 v[58:59], v[228:229], s[46:47]
	s_mov_b32 s56, 0x2a9d6da3
	v_add_f64 v[20:21], v[114:115], v[20:21]
	v_fma_f64 v[32:33], s[50:51], v[216:217], v[26:27]
	v_fmac_f64_e32 v[26:27], s[30:31], v[216:217]
	v_accvgpr_write_b32 a8, v10
	v_add_f64 v[24:25], v[38:39], v[24:25]
	v_mul_f64 v[38:39], v[220:221], s[38:39]
	s_mov_b32 s45, 0xbfd71e95
	s_mov_b32 s44, s52
	v_add_f64 v[22:23], v[34:35], v[22:23]
	v_add_f64 v[230:231], v[124:125], -v[28:29]
	v_mul_f64 v[56:57], v[226:227], s[10:11]
	v_fma_f64 v[34:35], v[208:209], s[10:11], -v[58:59]
	s_mov_b32 s42, 0x75d4884
	s_mov_b32 s57, 0x3fe58eea
	v_add_f64 v[26:27], v[114:115], v[26:27]
	v_accvgpr_write_b32 a9, v11
	v_add_f64 v[20:21], v[156:157], v[20:21]
	v_fma_f64 v[156:157], s[44:45], v[224:225], v[38:39]
	v_fmac_f64_e32 v[38:39], s[52:53], v[224:225]
	v_add_f64 v[0:1], v[34:35], v[0:1]
	v_fma_f64 v[34:35], s[46:47], v[230:231], v[56:57]
	s_mov_b32 s43, 0x3fe7a5f6
	v_mul_f64 v[10:11], v[228:229], s[56:57]
	v_add_f64 v[26:27], v[38:39], v[26:27]
	v_add_f64 v[2:3], v[34:35], v[2:3]
	v_mul_f64 v[38:39], v[226:227], s[42:43]
	v_accvgpr_write_b32 a81, v11
	v_fma_f64 v[34:35], v[208:209], s[42:43], -v[10:11]
	v_accvgpr_write_b32 a80, v10
	v_add_f64 v[4:5], v[34:35], v[4:5]
	v_accvgpr_write_b32 a59, v39
	v_fma_f64 v[34:35], s[56:57], v[230:231], v[38:39]
	v_mul_f64 v[10:11], v[228:229], s[44:45]
	v_accvgpr_write_b32 a58, v38
	v_add_f64 v[6:7], v[34:35], v[6:7]
	v_mul_f64 v[38:39], v[226:227], s[38:39]
	v_fma_f64 v[34:35], v[208:209], s[38:39], -v[10:11]
	v_add_f64 v[8:9], v[34:35], v[8:9]
	v_fma_f64 v[34:35], s[44:45], v[230:231], v[38:39]
	v_accvgpr_write_b32 a2, v38
	v_add_f64 v[12:13], v[34:35], v[12:13]
	v_mul_f64 v[34:35], v[228:229], s[18:19]
	v_accvgpr_write_b32 a3, v39
	v_fma_f64 v[38:39], s[8:9], v[208:209], v[34:35]
	v_add_f64 v[32:33], v[114:115], v[32:33]
	v_add_f64 v[16:17], v[38:39], v[16:17]
	v_mul_f64 v[38:39], v[226:227], s[8:9]
	s_mov_b32 s59, 0x3fefdd0d
	s_mov_b32 s58, s18
	v_fma_f64 v[34:35], v[208:209], s[8:9], -v[34:35]
	v_add_f64 v[32:33], v[156:157], v[32:33]
	v_fma_f64 v[156:157], s[58:59], v[230:231], v[38:39]
	v_add_f64 v[14:15], v[34:35], v[14:15]
	v_fmac_f64_e32 v[38:39], s[18:19], v[230:231]
	v_mul_f64 v[34:35], v[228:229], s[26:27]
	v_add_f64 v[18:19], v[38:39], v[18:19]
	v_fma_f64 v[38:39], s[20:21], v[208:209], v[34:35]
	v_accvgpr_write_b32 a25, v11
	v_add_f64 v[24:25], v[38:39], v[24:25]
	v_mul_f64 v[38:39], v[226:227], s[20:21]
	v_add_f64 v[236:237], v[130:131], -v[110:111]
	v_accvgpr_write_b32 a24, v10
	v_add_f64 v[20:21], v[156:157], v[20:21]
	v_fma_f64 v[156:157], s[36:37], v[230:231], v[38:39]
	v_fma_f64 v[34:35], v[208:209], s[20:21], -v[34:35]
	v_fmac_f64_e32 v[38:39], s[26:27], v[230:231]
	v_add_f64 v[232:233], v[128:129], v[108:109]
	v_add_f64 v[234:235], v[130:131], v[110:111]
	v_mul_f64 v[10:11], v[236:237], s[52:53]
	v_add_f64 v[22:23], v[34:35], v[22:23]
	v_add_f64 v[26:27], v[38:39], v[26:27]
	v_add_f64 v[238:239], v[128:129], -v[108:109]
	v_mul_f64 v[38:39], v[234:235], s[38:39]
	v_accvgpr_write_b32 a83, v11
	v_fma_f64 v[34:35], v[232:233], s[38:39], -v[10:11]
	v_accvgpr_write_b32 a82, v10
	v_add_f64 v[0:1], v[34:35], v[0:1]
	v_accvgpr_write_b32 a85, v39
	v_fma_f64 v[34:35], s[52:53], v[238:239], v[38:39]
	v_mul_f64 v[10:11], v[236:237], s[40:41]
	v_accvgpr_write_b32 a84, v38
	v_add_f64 v[2:3], v[34:35], v[2:3]
	v_mul_f64 v[38:39], v[234:235], s[34:35]
	v_accvgpr_write_b32 a87, v11
	v_fma_f64 v[34:35], v[232:233], s[34:35], -v[10:11]
	v_accvgpr_write_b32 a86, v10
	v_add_f64 v[4:5], v[34:35], v[4:5]
	v_accvgpr_write_b32 a61, v39
	v_fma_f64 v[34:35], s[40:41], v[238:239], v[38:39]
	v_mul_f64 v[10:11], v[236:237], s[26:27]
	v_accvgpr_write_b32 a60, v38
	v_add_f64 v[6:7], v[34:35], v[6:7]
	v_mul_f64 v[38:39], v[234:235], s[20:21]
	v_fma_f64 v[34:35], v[232:233], s[20:21], -v[10:11]
	v_add_f64 v[8:9], v[34:35], v[8:9]
	v_fma_f64 v[34:35], s[26:27], v[238:239], v[38:39]
	s_mov_b32 s61, 0x3fe9895b
	s_mov_b32 s60, s24
	v_accvgpr_write_b32 a20, v38
	v_add_f64 v[12:13], v[34:35], v[12:13]
	v_mul_f64 v[34:35], v[236:237], s[60:61]
	v_accvgpr_write_b32 a21, v39
	v_fma_f64 v[38:39], s[16:17], v[232:233], v[34:35]
	v_add_f64 v[16:17], v[38:39], v[16:17]
	v_mul_f64 v[38:39], v[234:235], s[16:17]
	v_fma_f64 v[34:35], v[232:233], s[16:17], -v[34:35]
	v_add_f64 v[32:33], v[156:157], v[32:33]
	v_fma_f64 v[156:157], s[24:25], v[238:239], v[38:39]
	v_add_f64 v[14:15], v[34:35], v[14:15]
	v_fmac_f64_e32 v[38:39], s[60:61], v[238:239]
	v_mul_f64 v[34:35], v[236:237], s[56:57]
	v_add_f64 v[18:19], v[38:39], v[18:19]
	v_fma_f64 v[38:39], s[42:43], v[232:233], v[34:35]
	v_accvgpr_write_b32 a27, v11
	v_add_f64 v[24:25], v[38:39], v[24:25]
	v_mul_f64 v[38:39], v[234:235], s[42:43]
	s_mov_b32 s55, 0xbfe58eea
	s_mov_b32 s54, s56
	v_add_f64 v[244:245], v[142:143], -v[106:107]
	v_accvgpr_write_b32 a26, v10
	v_add_f64 v[20:21], v[156:157], v[20:21]
	v_fma_f64 v[156:157], s[54:55], v[238:239], v[38:39]
	v_fma_f64 v[34:35], v[232:233], s[42:43], -v[34:35]
	v_fmac_f64_e32 v[38:39], s[56:57], v[238:239]
	v_add_f64 v[240:241], v[140:141], v[104:105]
	v_add_f64 v[242:243], v[142:143], v[106:107]
	v_mul_f64 v[10:11], v[244:245], s[40:41]
	v_add_f64 v[22:23], v[34:35], v[22:23]
	v_add_f64 v[26:27], v[38:39], v[26:27]
	v_add_f64 v[246:247], v[140:141], -v[104:105]
	v_mul_f64 v[38:39], v[242:243], s[34:35]
	v_accvgpr_write_b32 a89, v11
	v_fma_f64 v[34:35], v[240:241], s[34:35], -v[10:11]
	v_accvgpr_write_b32 a88, v10
	v_add_f64 v[0:1], v[34:35], v[0:1]
	v_accvgpr_write_b32 a91, v39
	v_fma_f64 v[34:35], s[40:41], v[246:247], v[38:39]
	v_mul_f64 v[10:11], v[244:245], s[30:31]
	v_accvgpr_write_b32 a90, v38
	v_add_f64 v[2:3], v[34:35], v[2:3]
	v_mul_f64 v[38:39], v[242:243], s[28:29]
	v_accvgpr_write_b32 a93, v11
	v_fma_f64 v[34:35], v[240:241], s[28:29], -v[10:11]
	v_accvgpr_write_b32 a92, v10
	v_add_f64 v[4:5], v[34:35], v[4:5]
	v_fma_f64 v[34:35], s[30:31], v[246:247], v[38:39]
	v_mul_f64 v[10:11], v[244:245], s[58:59]
	v_add_f64 v[6:7], v[34:35], v[6:7]
	v_mul_f64 v[186:187], v[242:243], s[8:9]
	v_fma_f64 v[34:35], v[240:241], s[8:9], -v[10:11]
	v_add_f64 v[8:9], v[34:35], v[8:9]
	v_fma_f64 v[34:35], s[58:59], v[246:247], v[186:187]
	v_accvgpr_write_b32 a63, v39
	v_add_f64 v[12:13], v[34:35], v[12:13]
	v_mul_f64 v[34:35], v[244:245], s[44:45]
	v_accvgpr_write_b32 a62, v38
	v_fma_f64 v[38:39], s[38:39], v[240:241], v[34:35]
	v_add_f64 v[16:17], v[38:39], v[16:17]
	v_mul_f64 v[38:39], v[242:243], s[38:39]
	v_fma_f64 v[34:35], v[240:241], s[38:39], -v[34:35]
	v_add_f64 v[32:33], v[156:157], v[32:33]
	v_fma_f64 v[156:157], s[52:53], v[246:247], v[38:39]
	v_add_f64 v[14:15], v[34:35], v[14:15]
	v_fmac_f64_e32 v[38:39], s[44:45], v[246:247]
	v_mul_f64 v[34:35], v[244:245], s[24:25]
	v_add_f64 v[18:19], v[38:39], v[18:19]
	v_fma_f64 v[38:39], s[16:17], v[240:241], v[34:35]
	v_accvgpr_write_b32 a65, v11
	v_add_f64 v[24:25], v[38:39], v[24:25]
	v_mul_f64 v[38:39], v[242:243], s[16:17]
	v_add_f64 v[252:253], v[154:155], -v[102:103]
	v_accvgpr_write_b32 a64, v10
	v_add_f64 v[20:21], v[156:157], v[20:21]
	v_fma_f64 v[156:157], s[60:61], v[246:247], v[38:39]
	v_fma_f64 v[34:35], v[240:241], s[16:17], -v[34:35]
	v_fmac_f64_e32 v[38:39], s[24:25], v[246:247]
	v_add_f64 v[250:251], v[152:153], v[100:101]
	v_add_f64 v[248:249], v[154:155], v[102:103]
	v_mul_f64 v[10:11], v[252:253], s[26:27]
	v_add_f64 v[22:23], v[34:35], v[22:23]
	v_add_f64 v[26:27], v[38:39], v[26:27]
	v_add_f64 v[254:255], v[152:153], -v[100:101]
	v_mul_f64 v[38:39], v[248:249], s[20:21]
	v_accvgpr_write_b32 a95, v11
	v_fma_f64 v[34:35], v[250:251], s[20:21], -v[10:11]
	v_accvgpr_write_b32 a94, v10
	v_add_f64 v[0:1], v[34:35], v[0:1]
	v_accvgpr_write_b32 a97, v39
	v_fma_f64 v[34:35], s[26:27], v[254:255], v[38:39]
	v_mul_f64 v[10:11], v[252:253], s[58:59]
	v_accvgpr_write_b32 a96, v38
	v_add_f64 v[2:3], v[34:35], v[2:3]
	v_mul_f64 v[38:39], v[248:249], s[8:9]
	v_fma_f64 v[34:35], v[250:251], s[8:9], -v[10:11]
	v_add_f64 v[4:5], v[34:35], v[4:5]
	v_fma_f64 v[34:35], s[58:59], v[254:255], v[38:39]
	v_mul_f64 v[192:193], v[252:253], s[54:55]
	v_accvgpr_write_b32 a67, v39
	v_add_f64 v[6:7], v[34:35], v[6:7]
	v_mul_f64 v[190:191], v[248:249], s[42:43]
	v_fma_f64 v[34:35], v[250:251], s[42:43], -v[192:193]
	v_accvgpr_write_b32 a66, v38
	v_add_f64 v[38:39], v[34:35], v[8:9]
	v_fma_f64 v[8:9], s[54:55], v[254:255], v[190:191]
	v_add_f64 v[32:33], v[156:157], v[32:33]
	v_add_f64 v[156:157], v[8:9], v[12:13]
	v_mul_f64 v[8:9], v[252:253], s[30:31]
	v_fma_f64 v[12:13], s[28:29], v[250:251], v[8:9]
	v_add_f64 v[158:159], v[12:13], v[16:17]
	v_mul_f64 v[12:13], v[248:249], s[28:29]
	v_fma_f64 v[8:9], v[250:251], s[28:29], -v[8:9]
	v_fma_f64 v[16:17], s[50:51], v[254:255], v[12:13]
	v_add_f64 v[160:161], v[8:9], v[14:15]
	v_fmac_f64_e32 v[12:13], s[30:31], v[254:255]
	v_mul_f64 v[8:9], v[252:253], s[48:49]
	v_add_f64 v[162:163], v[12:13], v[18:19]
	v_fma_f64 v[12:13], s[34:35], v[250:251], v[8:9]
	v_add_f64 v[20:21], v[16:17], v[20:21]
	v_add_f64 v[24:25], v[12:13], v[24:25]
	v_mul_f64 v[12:13], v[248:249], s[34:35]
	v_fma_f64 v[8:9], v[250:251], s[34:35], -v[8:9]
	v_add_f64 v[16:17], v[150:151], -v[134:135]
	v_fma_f64 v[14:15], s[40:41], v[254:255], v[12:13]
	v_add_f64 v[22:23], v[8:9], v[22:23]
	v_fmac_f64_e32 v[12:13], s[48:49], v[254:255]
	v_mul_f64 v[8:9], v[16:17], s[60:61]
	v_accvgpr_write_b32 a99, v11
	v_add_f64 v[32:33], v[14:15], v[32:33]
	v_add_f64 v[26:27], v[12:13], v[26:27]
	;; [unrolled: 1-line block ×4, first 2 shown]
	v_accvgpr_write_b32 a101, v9
	v_accvgpr_write_b32 a98, v10
	v_add_f64 v[18:19], v[148:149], -v[132:133]
	v_mul_f64 v[10:11], v[14:15], s[16:17]
	v_accvgpr_write_b32 a100, v8
	v_fma_f64 v[8:9], v[12:13], s[16:17], -v[8:9]
	v_add_f64 v[0:1], v[8:9], v[0:1]
	v_fma_f64 v[8:9], s[60:61], v[18:19], v[10:11]
	v_add_f64 v[166:167], v[8:9], v[2:3]
	v_mul_f64 v[2:3], v[16:17], s[44:45]
	v_accvgpr_write_b32 a105, v3
	v_mul_f64 v[8:9], v[14:15], s[38:39]
	v_accvgpr_write_b32 a104, v2
	v_fma_f64 v[2:3], v[12:13], s[38:39], -v[2:3]
	v_add_f64 v[4:5], v[2:3], v[4:5]
	v_fma_f64 v[2:3], s[44:45], v[18:19], v[8:9]
	v_mul_f64 v[34:35], v[16:17], s[30:31]
	v_add_f64 v[168:169], v[2:3], v[6:7]
	v_mul_f64 v[188:189], v[14:15], s[28:29]
	v_fma_f64 v[2:3], v[12:13], s[28:29], -v[34:35]
	v_add_f64 v[170:171], v[2:3], v[38:39]
	v_fma_f64 v[2:3], s[30:31], v[18:19], v[188:189]
	v_add_f64 v[176:177], v[2:3], v[156:157]
	v_mul_f64 v[2:3], v[16:17], s[56:57]
	v_fma_f64 v[6:7], s[42:43], v[12:13], v[2:3]
	v_add_f64 v[182:183], v[6:7], v[158:159]
	v_mul_f64 v[6:7], v[14:15], s[42:43]
	v_fma_f64 v[2:3], v[12:13], s[42:43], -v[2:3]
	v_accvgpr_write_b32 a103, v11
	v_fma_f64 v[38:39], s[54:55], v[18:19], v[6:7]
	v_add_f64 v[172:173], v[2:3], v[160:161]
	v_fmac_f64_e32 v[6:7], s[56:57], v[18:19]
	v_mul_f64 v[2:3], v[16:17], s[22:23]
	v_accvgpr_write_b32 a102, v10
	v_add_f64 v[10:11], v[38:39], v[20:21]
	v_add_f64 v[174:175], v[6:7], v[162:163]
	v_fma_f64 v[6:7], s[10:11], v[12:13], v[2:3]
	v_mul_f64 v[20:21], v[14:15], s[10:11]
	v_add_f64 v[6:7], v[6:7], v[24:25]
	v_fma_f64 v[24:25], s[46:47], v[18:19], v[20:21]
	v_add_f64 v[178:179], v[24:25], v[32:33]
	v_fma_f64 v[2:3], v[12:13], s[10:11], -v[2:3]
	v_fmac_f64_e32 v[20:21], s[22:23], v[18:19]
	v_add_f64 v[24:25], v[146:147], -v[138:139]
	v_add_f64 v[180:181], v[2:3], v[22:23]
	v_add_f64 v[2:3], v[20:21], v[26:27]
	;; [unrolled: 1-line block ×4, first 2 shown]
	v_mul_f64 v[38:39], v[24:25], s[56:57]
	v_add_f64 v[26:27], v[144:145], -v[136:137]
	v_mul_f64 v[32:33], v[22:23], s[42:43]
	v_fma_f64 v[156:157], v[20:21], s[42:43], -v[38:39]
	v_add_f64 v[164:165], v[156:157], v[0:1]
	v_fma_f64 v[0:1], s[56:57], v[26:27], v[32:33]
	v_mul_f64 v[196:197], v[24:25], s[24:25]
	v_add_f64 v[166:167], v[0:1], v[166:167]
	v_fma_f64 v[0:1], v[20:21], s[16:17], -v[196:197]
	v_add_f64 v[160:161], v[0:1], v[4:5]
	v_mul_f64 v[4:5], v[22:23], s[34:35]
	v_mul_f64 v[198:199], v[22:23], s[16:17]
	v_fma_f64 v[158:159], s[48:49], v[26:27], v[4:5]
	v_fma_f64 v[0:1], s[24:25], v[26:27], v[198:199]
	v_add_f64 v[158:159], v[158:159], v[176:177]
	v_mul_f64 v[176:177], v[24:25], s[22:23]
	v_add_f64 v[162:163], v[0:1], v[168:169]
	v_mul_f64 v[0:1], v[24:25], s[48:49]
	v_fma_f64 v[168:169], s[10:11], v[20:21], v[176:177]
	v_fma_f64 v[156:157], v[20:21], s[34:35], -v[0:1]
	v_add_f64 v[168:169], v[168:169], v[182:183]
	v_mul_f64 v[182:183], v[22:23], s[10:11]
	v_add_f64 v[156:157], v[156:157], v[170:171]
	v_fma_f64 v[170:171], s[46:47], v[26:27], v[182:183]
	v_add_f64 v[170:171], v[170:171], v[10:11]
	v_fma_f64 v[10:11], v[20:21], s[10:11], -v[176:177]
	v_add_f64 v[172:173], v[10:11], v[172:173]
	v_mul_f64 v[10:11], v[24:25], s[58:59]
	v_fma_f64 v[176:177], s[8:9], v[20:21], v[10:11]
	v_fmac_f64_e32 v[182:183], s[22:23], v[26:27]
	v_add_f64 v[176:177], v[176:177], v[6:7]
	v_mul_f64 v[6:7], v[22:23], s[8:9]
	v_add_f64 v[174:175], v[182:183], v[174:175]
	v_fma_f64 v[182:183], s[18:19], v[26:27], v[6:7]
	v_fma_f64 v[10:11], v[20:21], s[8:9], -v[10:11]
	v_fmac_f64_e32 v[6:7], s[58:59], v[26:27]
	v_add_f64 v[178:179], v[182:183], v[178:179]
	v_add_f64 v[180:181], v[10:11], v[180:181]
	v_add_f64 v[182:183], v[6:7], v[2:3]
	s_barrier
	s_and_saveexec_b64 s[62:63], s[0:1]
	s_cbranch_execz .LBB0_17
; %bb.16:
	v_accvgpr_write_b32 a109, v79
	v_mul_f64 v[10:11], v[246:247], s[58:59]
	v_accvgpr_write_b32 a108, v78
	v_accvgpr_write_b32 a107, v77
	;; [unrolled: 1-line block ×3, first 2 shown]
	v_pk_mov_b32 v[76:77], v[38:39], v[38:39] op_sel:[0,1]
	v_accvgpr_read_b32 v39, a21
	v_mul_f64 v[2:3], v[26:27], s[48:49]
	v_add_f64 v[10:11], v[186:187], -v[10:11]
	v_mul_f64 v[186:187], v[238:239], s[26:27]
	v_accvgpr_read_b32 v38, a20
	v_add_f64 v[2:3], v[4:5], -v[2:3]
	v_mul_f64 v[4:5], v[18:19], s[30:31]
	v_add_f64 v[186:187], v[38:39], -v[186:187]
	v_accvgpr_read_b32 v39, a3
	v_add_f64 v[4:5], v[188:189], -v[4:5]
	v_mul_f64 v[188:189], v[230:231], s[44:45]
	v_accvgpr_read_b32 v38, a2
	v_add_f64 v[188:189], v[38:39], -v[188:189]
	v_accvgpr_read_b32 v39, a11
	v_mul_f64 v[6:7], v[254:255], s[54:55]
	v_accvgpr_write_b32 a2, v185
	v_mul_f64 v[184:185], v[216:217], s[24:25]
	v_accvgpr_read_b32 v38, a10
	v_add_f64 v[6:7], v[190:191], -v[6:7]
	v_mul_f64 v[190:191], v[224:225], s[46:47]
	v_add_f64 v[184:185], v[38:39], -v[184:185]
	v_add_f64 v[190:191], v[54:55], -v[190:191]
	v_add_f64 v[184:185], v[114:115], v[184:185]
	v_add_f64 v[184:185], v[190:191], v[184:185]
	;; [unrolled: 1-line block ×4, first 2 shown]
	v_accvgpr_read_b32 v38, a64
	v_add_f64 v[10:11], v[10:11], v[184:185]
	v_mul_f64 v[184:185], v[240:241], s[8:9]
	v_accvgpr_read_b32 v39, a65
	v_add_f64 v[184:185], v[184:185], v[38:39]
	v_accvgpr_read_b32 v39, a27
	v_add_f64 v[6:7], v[6:7], v[10:11]
	v_mul_f64 v[186:187], v[232:233], s[20:21]
	v_accvgpr_read_b32 v38, a26
	v_add_f64 v[4:5], v[4:5], v[6:7]
	v_mul_f64 v[6:7], v[20:21], s[34:35]
	v_add_f64 v[186:187], v[186:187], v[38:39]
	v_accvgpr_read_b32 v39, a25
	v_add_f64 v[0:1], v[6:7], v[0:1]
	v_mul_f64 v[6:7], v[12:13], s[28:29]
	v_mul_f64 v[188:189], v[208:209], s[38:39]
	v_accvgpr_read_b32 v38, a24
	v_add_f64 v[6:7], v[6:7], v[34:35]
	v_mul_f64 v[34:35], v[250:251], s[42:43]
	v_add_f64 v[188:189], v[188:189], v[38:39]
	v_accvgpr_read_b32 v39, a7
	v_add_f64 v[34:35], v[34:35], v[192:193]
	v_mul_f64 v[192:193], v[210:211], s[16:17]
	v_accvgpr_read_b32 v38, a6
	v_mul_f64 v[190:191], v[218:219], s[10:11]
	v_add_f64 v[192:193], v[192:193], v[38:39]
	v_add_f64 v[190:191], v[190:191], v[52:53]
	;; [unrolled: 1-line block ×9, first 2 shown]
	v_mul_f64 v[4:5], v[18:19], s[44:45]
	v_add_f64 v[6:7], v[6:7], v[34:35]
	v_add_f64 v[4:5], v[8:9], -v[4:5]
	v_accvgpr_read_b32 v8, a66
	v_add_f64 v[184:185], v[0:1], v[6:7]
	v_mul_f64 v[6:7], v[254:255], s[58:59]
	v_accvgpr_read_b32 v9, a67
	v_accvgpr_read_b32 v38, a62
	v_add_f64 v[6:7], v[8:9], -v[6:7]
	v_mul_f64 v[8:9], v[246:247], s[30:31]
	v_accvgpr_read_b32 v39, a63
	v_mul_f64 v[2:3], v[26:27], s[24:25]
	v_add_f64 v[8:9], v[38:39], -v[8:9]
	v_accvgpr_read_b32 v38, a60
	v_add_f64 v[2:3], v[198:199], -v[2:3]
	v_mul_f64 v[198:199], v[238:239], s[40:41]
	v_accvgpr_read_b32 v39, a61
	v_add_f64 v[198:199], v[38:39], -v[198:199]
	v_accvgpr_read_b32 v38, a58
	v_pk_mov_b32 v[54:55], v[60:61], v[60:61] op_sel:[0,1]
	v_accvgpr_read_b32 v61, a57
	v_accvgpr_read_b32 v39, a59
	;; [unrolled: 1-line block ×3, first 2 shown]
	v_accvgpr_write_b32 a56, v62
	v_accvgpr_write_b32 a60, v66
	;; [unrolled: 1-line block ×8, first 2 shown]
	v_pk_mov_b32 v[66:67], v[30:31], v[30:31] op_sel:[0,1]
	v_pk_mov_b32 v[64:65], v[28:29], v[28:29] op_sel:[0,1]
	v_accvgpr_read_b32 v31, a5
	v_mul_f64 v[192:193], v[216:217], s[22:23]
	v_accvgpr_read_b32 v30, a4
	v_mul_f64 v[190:191], v[224:225], s[36:37]
	v_add_f64 v[30:31], v[30:31], -v[192:193]
	v_accvgpr_write_b32 a3, v194
	v_mul_f64 v[194:195], v[230:231], s[56:57]
	v_add_f64 v[190:191], v[60:61], -v[190:191]
	v_add_f64 v[30:31], v[114:115], v[30:31]
	v_add_f64 v[194:195], v[38:39], -v[194:195]
	v_add_f64 v[30:31], v[190:191], v[30:31]
	v_accvgpr_write_b32 a64, v70
	v_add_f64 v[30:31], v[194:195], v[30:31]
	v_accvgpr_write_b32 a65, v71
	v_accvgpr_write_b32 a66, v72
	;; [unrolled: 1-line block ×3, first 2 shown]
	v_pk_mov_b32 v[62:63], v[74:75], v[74:75] op_sel:[0,1]
	v_pk_mov_b32 v[74:75], v[46:47], v[46:47] op_sel:[0,1]
	v_add_f64 v[30:31], v[198:199], v[30:31]
	v_pk_mov_b32 v[72:73], v[44:45], v[44:45] op_sel:[0,1]
	v_accvgpr_read_b32 v46, a86
	v_mul_f64 v[190:191], v[232:233], s[34:35]
	v_add_f64 v[8:9], v[8:9], v[30:31]
	v_accvgpr_read_b32 v47, a87
	v_add_f64 v[6:7], v[6:7], v[8:9]
	v_add_f64 v[46:47], v[190:191], v[46:47]
	v_accvgpr_read_b32 v191, a9
	v_mul_f64 v[188:189], v[218:219], s[20:21]
	v_add_f64 v[4:5], v[4:5], v[6:7]
	v_accvgpr_read_b32 v190, a8
	v_accvgpr_write_b32 a20, v200
	v_add_f64 v[188:189], v[188:189], v[190:191]
	v_add_f64 v[190:191], v[2:3], v[4:5]
	v_accvgpr_read_b32 v2, a12
	v_accvgpr_write_b32 a21, v201
	v_accvgpr_write_b32 a22, v202
	;; [unrolled: 1-line block ×3, first 2 shown]
	v_mul_f64 v[202:203], v[210:211], s[10:11]
	v_accvgpr_write_b32 a4, v48
	v_accvgpr_read_b32 v3, a13
	v_mul_f64 v[6:7], v[20:21], s[16:17]
	v_accvgpr_read_b32 v52, a104
	v_accvgpr_write_b32 a5, v49
	v_accvgpr_write_b32 a6, v50
	;; [unrolled: 1-line block ×3, first 2 shown]
	v_accvgpr_read_b32 v50, a80
	v_add_f64 v[2:3], v[202:203], v[2:3]
	v_mul_f64 v[38:39], v[208:209], s[42:43]
	v_add_f64 v[6:7], v[6:7], v[196:197]
	v_mul_f64 v[196:197], v[12:13], s[38:39]
	v_accvgpr_read_b32 v53, a105
	v_accvgpr_read_b32 v51, a81
	v_add_f64 v[2:3], v[112:113], v[2:3]
	v_add_f64 v[196:197], v[196:197], v[52:53]
	v_pk_mov_b32 v[70:71], v[42:43], v[42:43] op_sel:[0,1]
	v_accvgpr_read_b32 v52, a92
	v_add_f64 v[38:39], v[38:39], v[50:51]
	v_add_f64 v[2:3], v[188:189], v[2:3]
	v_mul_f64 v[30:31], v[240:241], s[28:29]
	v_pk_mov_b32 v[68:69], v[40:41], v[40:41] op_sel:[0,1]
	v_accvgpr_read_b32 v42, a98
	v_accvgpr_read_b32 v53, a93
	v_add_f64 v[2:3], v[38:39], v[2:3]
	v_mul_f64 v[40:41], v[250:251], s[8:9]
	v_accvgpr_read_b32 v43, a99
	v_add_f64 v[30:31], v[30:31], v[52:53]
	v_add_f64 v[2:3], v[46:47], v[2:3]
	;; [unrolled: 1-line block ×4, first 2 shown]
	v_mul_f64 v[10:11], v[216:217], s[18:19]
	v_accvgpr_write_b32 a24, v204
	v_add_f64 v[2:3], v[40:41], v[2:3]
	v_accvgpr_read_b32 v39, a19
	v_accvgpr_write_b32 a25, v205
	v_accvgpr_write_b32 a26, v206
	;; [unrolled: 1-line block ×3, first 2 shown]
	v_mul_f64 v[206:207], v[224:225], s[30:31]
	v_mul_f64 v[52:53], v[26:27], s[56:57]
	v_add_f64 v[2:3], v[196:197], v[2:3]
	v_accvgpr_read_b32 v38, a18
	v_add_f64 v[10:11], v[62:63], -v[10:11]
	v_mul_f64 v[0:1], v[230:231], s[46:47]
	v_add_f64 v[188:189], v[6:7], v[2:3]
	v_add_f64 v[2:3], v[32:33], -v[52:53]
	v_accvgpr_read_b32 v32, a84
	v_add_f64 v[38:39], v[38:39], -v[206:207]
	v_add_f64 v[10:11], v[114:115], v[10:11]
	v_mul_f64 v[192:193], v[238:239], s[52:53]
	v_accvgpr_read_b32 v30, a90
	v_accvgpr_read_b32 v33, a85
	v_add_f64 v[0:1], v[56:57], -v[0:1]
	v_add_f64 v[10:11], v[38:39], v[10:11]
	v_mul_f64 v[198:199], v[246:247], s[40:41]
	v_accvgpr_read_b32 v6, a96
	;; [unrolled: 5-line block ×4, first 2 shown]
	v_add_f64 v[6:7], v[6:7], -v[42:43]
	v_add_f64 v[0:1], v[30:31], v[0:1]
	v_add_f64 v[4:5], v[4:5], -v[48:49]
	v_add_f64 v[0:1], v[6:7], v[0:1]
	v_add_f64 v[0:1], v[4:5], v[0:1]
	v_accvgpr_read_b32 v4, a94
	v_mul_f64 v[8:9], v[250:251], s[20:21]
	v_accvgpr_read_b32 v5, a95
	v_add_f64 v[4:5], v[8:9], v[4:5]
	v_accvgpr_read_b32 v8, a82
	v_mul_f64 v[28:29], v[232:233], s[38:39]
	v_accvgpr_read_b32 v9, a83
	v_mul_f64 v[200:201], v[210:211], s[8:9]
	v_add_f64 v[8:9], v[28:29], v[8:9]
	v_accvgpr_read_b32 v29, a17
	v_mul_f64 v[204:205], v[218:219], s[28:29]
	v_accvgpr_read_b32 v28, a16
	v_add_f64 v[30:31], v[200:201], v[54:55]
	v_mul_f64 v[34:35], v[208:209], s[10:11]
	v_add_f64 v[198:199], v[2:3], v[0:1]
	v_accvgpr_read_b32 v2, a100
	v_add_f64 v[28:29], v[204:205], v[28:29]
	v_add_f64 v[30:31], v[112:113], v[30:31]
	v_mul_f64 v[46:47], v[216:217], s[40:41]
	v_mul_f64 v[44:45], v[12:13], s[16:17]
	v_accvgpr_read_b32 v3, a101
	v_accvgpr_read_b32 v6, a88
	v_add_f64 v[10:11], v[34:35], v[58:59]
	v_add_f64 v[28:29], v[28:29], v[30:31]
	v_mul_f64 v[42:43], v[224:225], s[24:25]
	v_fma_f64 v[48:49], s[34:35], v[212:213], v[46:47]
	v_mul_f64 v[194:195], v[240:241], s[34:35]
	v_add_f64 v[2:3], v[44:45], v[2:3]
	v_accvgpr_read_b32 v7, a89
	v_add_f64 v[10:11], v[10:11], v[28:29]
	v_mul_f64 v[38:39], v[230:231], s[50:51]
	v_fma_f64 v[44:45], s[16:17], v[220:221], v[42:43]
	v_add_f64 v[48:49], v[114:115], v[48:49]
	v_mul_f64 v[204:205], v[214:215], s[40:41]
	v_add_f64 v[6:7], v[194:195], v[6:7]
	v_add_f64 v[8:9], v[8:9], v[10:11]
	v_mul_f64 v[32:33], v[238:239], s[46:47]
	v_fma_f64 v[40:41], s[28:29], v[226:227], v[38:39]
	v_add_f64 v[44:45], v[44:45], v[48:49]
	v_mul_f64 v[200:201], v[222:223], s[24:25]
	v_fma_f64 v[206:207], v[210:211], s[34:35], -v[204:205]
	v_mul_f64 v[50:51], v[20:21], s[42:43]
	v_add_f64 v[6:7], v[6:7], v[8:9]
	v_mul_f64 v[28:29], v[246:247], s[56:57]
	v_fma_f64 v[34:35], s[10:11], v[234:235], v[32:33]
	v_add_f64 v[40:41], v[40:41], v[44:45]
	v_mul_f64 v[54:55], v[228:229], s[50:51]
	v_fma_f64 v[202:203], v[218:219], s[16:17], -v[200:201]
	v_add_f64 v[206:207], v[112:113], v[206:207]
	v_add_f64 v[0:1], v[50:51], v[76:77]
	;; [unrolled: 1-line block ×3, first 2 shown]
	v_mul_f64 v[8:9], v[254:255], s[44:45]
	v_fma_f64 v[30:31], s[42:43], v[242:243], v[28:29]
	v_add_f64 v[34:35], v[34:35], v[40:41]
	v_mul_f64 v[50:51], v[236:237], s[46:47]
	v_fma_f64 v[192:193], v[208:209], s[28:29], -v[54:55]
	v_add_f64 v[202:203], v[202:203], v[206:207]
	v_add_f64 v[2:3], v[2:3], v[4:5]
	v_mul_f64 v[4:5], v[18:19], s[18:19]
	v_fma_f64 v[10:11], s[38:39], v[248:249], v[8:9]
	v_add_f64 v[30:31], v[30:31], v[34:35]
	v_mul_f64 v[44:45], v[244:245], s[56:57]
	v_fma_f64 v[52:53], v[232:233], s[10:11], -v[50:51]
	v_add_f64 v[192:193], v[192:193], v[202:203]
	v_add_f64 v[196:197], v[0:1], v[2:3]
	v_mul_f64 v[0:1], v[26:27], s[26:27]
	v_fma_f64 v[6:7], s[8:9], v[14:15], v[4:5]
	v_add_f64 v[10:11], v[10:11], v[30:31]
	v_mul_f64 v[34:35], v[252:253], s[44:45]
	v_fma_f64 v[48:49], v[240:241], s[42:43], -v[44:45]
	v_add_f64 v[52:53], v[52:53], v[192:193]
	v_fma_f64 v[2:3], s[20:21], v[22:23], v[0:1]
	v_add_f64 v[6:7], v[6:7], v[10:11]
	v_mul_f64 v[10:11], v[16:17], s[18:19]
	v_fma_f64 v[40:41], v[250:251], s[38:39], -v[34:35]
	v_add_f64 v[48:49], v[48:49], v[52:53]
	v_add_f64 v[194:195], v[2:3], v[6:7]
	v_mul_f64 v[2:3], v[24:25], s[26:27]
	v_fma_f64 v[30:31], v[12:13], s[8:9], -v[10:11]
	v_add_f64 v[40:41], v[40:41], v[48:49]
	v_fma_f64 v[6:7], v[20:21], s[20:21], -v[2:3]
	v_add_f64 v[30:31], v[30:31], v[40:41]
	v_add_f64 v[192:193], v[6:7], v[30:31]
	v_fma_f64 v[30:31], v[226:227], s[28:29], -v[38:39]
	v_fma_f64 v[38:39], v[212:213], s[34:35], -v[46:47]
	;; [unrolled: 1-line block ×6, first 2 shown]
	v_add_f64 v[38:39], v[114:115], v[38:39]
	v_add_f64 v[32:33], v[32:33], v[38:39]
	;; [unrolled: 1-line block ×5, first 2 shown]
	v_fma_f64 v[4:5], v[14:15], s[8:9], -v[4:5]
	v_add_f64 v[6:7], v[6:7], v[8:9]
	v_fma_f64 v[0:1], v[22:23], s[20:21], -v[0:1]
	v_add_f64 v[4:5], v[4:5], v[6:7]
	v_fmac_f64_e32 v[204:205], s[34:35], v[210:211]
	v_add_f64 v[206:207], v[0:1], v[4:5]
	v_fmac_f64_e32 v[200:201], s[16:17], v[218:219]
	;; [unrolled: 2-line block ×4, first 2 shown]
	v_add_f64 v[0:1], v[54:55], v[0:1]
	v_mul_f64 v[46:47], v[216:217], s[54:55]
	v_fmac_f64_e32 v[44:45], s[42:43], v[240:241]
	v_add_f64 v[0:1], v[50:51], v[0:1]
	v_mul_f64 v[42:43], v[224:225], s[18:19]
	v_fma_f64 v[48:49], s[42:43], v[212:213], v[46:47]
	v_add_f64 v[0:1], v[44:45], v[0:1]
	v_mul_f64 v[38:39], v[230:231], s[24:25]
	v_fma_f64 v[44:45], s[8:9], v[220:221], v[42:43]
	v_add_f64 v[48:49], v[114:115], v[48:49]
	v_mul_f64 v[60:61], v[214:215], s[54:55]
	v_fmac_f64_e32 v[34:35], s[38:39], v[250:251]
	v_mul_f64 v[32:33], v[238:239], s[30:31]
	v_fma_f64 v[40:41], s[16:17], v[226:227], v[38:39]
	v_add_f64 v[44:45], v[44:45], v[48:49]
	v_mul_f64 v[56:57], v[222:223], s[18:19]
	v_fma_f64 v[62:63], v[210:211], s[42:43], -v[60:61]
	v_add_f64 v[0:1], v[34:35], v[0:1]
	v_mul_f64 v[28:29], v[246:247], s[36:37]
	v_fma_f64 v[34:35], s[28:29], v[234:235], v[32:33]
	v_add_f64 v[40:41], v[40:41], v[44:45]
	v_mul_f64 v[54:55], v[228:229], s[24:25]
	v_fma_f64 v[58:59], v[218:219], s[8:9], -v[56:57]
	v_add_f64 v[62:63], v[112:113], v[62:63]
	v_fmac_f64_e32 v[10:11], s[8:9], v[12:13]
	v_mul_f64 v[8:9], v[254:255], s[46:47]
	v_fma_f64 v[30:31], s[20:21], v[242:243], v[28:29]
	v_add_f64 v[34:35], v[34:35], v[40:41]
	v_mul_f64 v[50:51], v[236:237], s[30:31]
	v_fma_f64 v[200:201], v[208:209], s[16:17], -v[54:55]
	v_add_f64 v[58:59], v[58:59], v[62:63]
	v_fmac_f64_e32 v[2:3], s[20:21], v[20:21]
	v_add_f64 v[0:1], v[10:11], v[0:1]
	v_mul_f64 v[4:5], v[18:19], s[48:49]
	v_fma_f64 v[10:11], s[10:11], v[248:249], v[8:9]
	v_add_f64 v[30:31], v[30:31], v[34:35]
	v_mul_f64 v[44:45], v[244:245], s[36:37]
	v_fma_f64 v[52:53], v[232:233], s[28:29], -v[50:51]
	v_add_f64 v[58:59], v[200:201], v[58:59]
	v_add_f64 v[204:205], v[2:3], v[0:1]
	v_mul_f64 v[0:1], v[26:27], s[52:53]
	v_fma_f64 v[6:7], s[34:35], v[14:15], v[4:5]
	v_add_f64 v[10:11], v[10:11], v[30:31]
	v_mul_f64 v[34:35], v[252:253], s[46:47]
	v_fma_f64 v[48:49], v[240:241], s[20:21], -v[44:45]
	v_add_f64 v[52:53], v[52:53], v[58:59]
	v_fma_f64 v[2:3], s[38:39], v[22:23], v[0:1]
	v_add_f64 v[6:7], v[6:7], v[10:11]
	v_mul_f64 v[10:11], v[16:17], s[48:49]
	v_fma_f64 v[40:41], v[250:251], s[10:11], -v[34:35]
	v_add_f64 v[48:49], v[48:49], v[52:53]
	v_add_f64 v[202:203], v[2:3], v[6:7]
	v_mul_f64 v[6:7], v[24:25], s[52:53]
	v_fma_f64 v[30:31], v[12:13], s[34:35], -v[10:11]
	v_add_f64 v[40:41], v[40:41], v[48:49]
	v_fma_f64 v[2:3], v[20:21], s[38:39], -v[6:7]
	v_add_f64 v[30:31], v[30:31], v[40:41]
	v_add_f64 v[200:201], v[2:3], v[30:31]
	v_fma_f64 v[30:31], v[226:227], s[16:17], -v[38:39]
	v_fma_f64 v[38:39], v[212:213], s[42:43], -v[46:47]
	;; [unrolled: 1-line block ×7, first 2 shown]
	v_add_f64 v[38:39], v[114:115], v[38:39]
	v_add_f64 v[32:33], v[32:33], v[38:39]
	;; [unrolled: 1-line block ×6, first 2 shown]
	v_fma_f64 v[0:1], v[22:23], s[38:39], -v[0:1]
	v_add_f64 v[2:3], v[2:3], v[4:5]
	v_fmac_f64_e32 v[60:61], s[42:43], v[210:211]
	v_add_f64 v[2:3], v[0:1], v[2:3]
	v_fmac_f64_e32 v[56:57], s[8:9], v[218:219]
	v_add_f64 v[0:1], v[112:113], v[60:61]
	v_fmac_f64_e32 v[54:55], s[16:17], v[208:209]
	v_add_f64 v[0:1], v[56:57], v[0:1]
	v_fmac_f64_e32 v[50:51], s[28:29], v[232:233]
	v_add_f64 v[0:1], v[54:55], v[0:1]
	v_mul_f64 v[46:47], v[216:217], s[44:45]
	v_fmac_f64_e32 v[44:45], s[20:21], v[240:241]
	v_add_f64 v[0:1], v[50:51], v[0:1]
	v_mul_f64 v[42:43], v[224:225], s[54:55]
	v_fma_f64 v[48:49], s[38:39], v[212:213], v[46:47]
	v_add_f64 v[0:1], v[44:45], v[0:1]
	v_mul_f64 v[38:39], v[230:231], s[40:41]
	v_fma_f64 v[44:45], s[42:43], v[220:221], v[42:43]
	v_add_f64 v[48:49], v[114:115], v[48:49]
	v_mul_f64 v[60:61], v[214:215], s[44:45]
	v_fmac_f64_e32 v[34:35], s[10:11], v[250:251]
	v_mul_f64 v[32:33], v[238:239], s[18:19]
	v_fma_f64 v[40:41], s[34:35], v[226:227], v[38:39]
	v_add_f64 v[44:45], v[44:45], v[48:49]
	v_mul_f64 v[56:57], v[222:223], s[54:55]
	v_fma_f64 v[62:63], v[210:211], s[38:39], -v[60:61]
	v_fmac_f64_e32 v[10:11], s[34:35], v[12:13]
	v_add_f64 v[0:1], v[34:35], v[0:1]
	v_mul_f64 v[28:29], v[246:247], s[22:23]
	v_fma_f64 v[34:35], s[8:9], v[234:235], v[32:33]
	v_add_f64 v[40:41], v[40:41], v[44:45]
	v_mul_f64 v[52:53], v[228:229], s[40:41]
	v_fma_f64 v[58:59], v[218:219], s[42:43], -v[56:57]
	v_add_f64 v[62:63], v[112:113], v[62:63]
	v_add_f64 v[0:1], v[10:11], v[0:1]
	v_mul_f64 v[10:11], v[18:19], s[26:27]
	v_mul_f64 v[18:19], v[254:255], s[24:25]
	v_fma_f64 v[30:31], s[10:11], v[242:243], v[28:29]
	v_add_f64 v[34:35], v[34:35], v[40:41]
	v_mul_f64 v[48:49], v[236:237], s[18:19]
	v_fma_f64 v[54:55], v[208:209], s[34:35], -v[52:53]
	v_add_f64 v[58:59], v[58:59], v[62:63]
	v_mul_f64 v[8:9], v[26:27], s[30:31]
	v_fma_f64 v[26:27], s[16:17], v[248:249], v[18:19]
	v_add_f64 v[30:31], v[30:31], v[34:35]
	v_mul_f64 v[40:41], v[244:245], s[22:23]
	v_fma_f64 v[50:51], v[232:233], s[8:9], -v[48:49]
	v_add_f64 v[54:55], v[54:55], v[58:59]
	v_fmac_f64_e32 v[6:7], s[38:39], v[20:21]
	v_add_f64 v[26:27], v[26:27], v[30:31]
	v_mul_f64 v[30:31], v[252:253], s[24:25]
	v_fma_f64 v[44:45], v[240:241], s[10:11], -v[40:41]
	v_add_f64 v[50:51], v[50:51], v[54:55]
	v_add_f64 v[0:1], v[6:7], v[0:1]
	v_fma_f64 v[6:7], s[20:21], v[14:15], v[10:11]
	v_mul_f64 v[16:17], v[16:17], s[26:27]
	v_fma_f64 v[34:35], v[250:251], s[16:17], -v[30:31]
	v_add_f64 v[44:45], v[44:45], v[50:51]
	v_fma_f64 v[4:5], s[28:29], v[22:23], v[8:9]
	v_add_f64 v[6:7], v[6:7], v[26:27]
	v_mul_f64 v[24:25], v[24:25], s[30:31]
	v_fma_f64 v[26:27], v[12:13], s[20:21], -v[16:17]
	v_add_f64 v[34:35], v[34:35], v[44:45]
	v_fma_f64 v[8:9], v[22:23], s[28:29], -v[8:9]
	v_fma_f64 v[22:23], v[234:235], s[8:9], -v[32:33]
	;; [unrolled: 1-line block ×3, first 2 shown]
	v_add_f64 v[6:7], v[4:5], v[6:7]
	v_fma_f64 v[4:5], v[20:21], s[28:29], -v[24:25]
	v_add_f64 v[26:27], v[26:27], v[34:35]
	v_fma_f64 v[10:11], v[14:15], s[20:21], -v[10:11]
	v_fma_f64 v[14:15], v[248:249], s[16:17], -v[18:19]
	;; [unrolled: 1-line block ×4, first 2 shown]
	v_add_f64 v[32:33], v[114:115], v[32:33]
	v_add_f64 v[4:5], v[4:5], v[26:27]
	v_fma_f64 v[26:27], v[226:227], s[34:35], -v[38:39]
	v_add_f64 v[28:29], v[28:29], v[32:33]
	v_add_f64 v[26:27], v[26:27], v[28:29]
	v_add_f64 v[22:23], v[22:23], v[26:27]
	v_add_f64 v[18:19], v[18:19], v[22:23]
	v_add_f64 v[14:15], v[14:15], v[18:19]
	v_add_f64 v[10:11], v[10:11], v[14:15]
	v_fmac_f64_e32 v[60:61], s[38:39], v[210:211]
	v_add_f64 v[14:15], v[8:9], v[10:11]
	v_fmac_f64_e32 v[56:57], s[42:43], v[218:219]
	v_add_f64 v[8:9], v[112:113], v[60:61]
	;; [unrolled: 2-line block ×8, first 2 shown]
	v_add_f64 v[12:13], v[24:25], v[8:9]
	v_add_f64 v[8:9], v[114:115], v[118:119]
	;; [unrolled: 1-line block ×33, first 2 shown]
	v_accvgpr_read_b32 v8, a14
	v_lshlrev_b32_e32 v8, 4, v8
	v_accvgpr_read_b32 v76, a106
	v_accvgpr_read_b32 v51, a7
	;; [unrolled: 1-line block ×5, first 2 shown]
	ds_write_b128 v8, v[16:19]
	ds_write_b128 v8, v[12:15] offset:16
	ds_write_b128 v8, v[0:3] offset:32
	;; [unrolled: 1-line block ×3, first 2 shown]
	v_accvgpr_read_b32 v207, a27
	ds_write_b128 v8, v[196:199] offset:64
	ds_write_b128 v8, v[188:191] offset:80
	;; [unrolled: 1-line block ×12, first 2 shown]
	v_accvgpr_read_b32 v203, a23
	v_accvgpr_read_b32 v77, a107
	;; [unrolled: 1-line block ×25, first 2 shown]
	ds_write_b128 v8, v[4:7] offset:256
.LBB0_17:
	s_or_b64 exec, exec, s[62:63]
	s_waitcnt lgkmcnt(0)
	s_barrier
	ds_read_b128 v[0:3], v36
	ds_read_b128 v[112:115], v36 offset:2992
	ds_read_b128 v[108:111], v36 offset:5984
	;; [unrolled: 1-line block ×6, first 2 shown]
	s_and_saveexec_b64 s[8:9], s[2:3]
	s_cbranch_execz .LBB0_19
; %bb.18:
	ds_read_b128 v[168:171], v36 offset:1904
	ds_read_b128 v[176:179], v36 offset:4896
	;; [unrolled: 1-line block ×7, first 2 shown]
.LBB0_19:
	s_or_b64 exec, exec, s[8:9]
	v_accvgpr_read_b32 v16, a44
	v_accvgpr_read_b32 v18, a46
	;; [unrolled: 1-line block ×5, first 2 shown]
	s_waitcnt lgkmcnt(5)
	v_mul_f64 v[12:13], v[18:19], v[114:115]
	v_mul_f64 v[14:15], v[18:19], v[112:113]
	v_accvgpr_read_b32 v22, a38
	v_accvgpr_read_b32 v23, a39
	;; [unrolled: 1-line block ×3, first 2 shown]
	v_fmac_f64_e32 v[12:13], v[16:17], v[112:113]
	v_fma_f64 v[14:15], v[16:17], v[114:115], -v[14:15]
	v_accvgpr_read_b32 v21, a37
	s_waitcnt lgkmcnt(4)
	v_mul_f64 v[16:17], v[22:23], v[110:111]
	v_mul_f64 v[18:19], v[22:23], v[108:109]
	v_accvgpr_read_b32 v26, a42
	v_accvgpr_read_b32 v27, a43
	;; [unrolled: 1-line block ×3, first 2 shown]
	v_fmac_f64_e32 v[16:17], v[20:21], v[108:109]
	v_fma_f64 v[18:19], v[20:21], v[110:111], -v[18:19]
	v_accvgpr_read_b32 v25, a41
	s_waitcnt lgkmcnt(3)
	v_mul_f64 v[20:21], v[26:27], v[106:107]
	v_mul_f64 v[22:23], v[26:27], v[104:105]
	v_accvgpr_read_b32 v30, a34
	v_accvgpr_read_b32 v31, a35
	v_fmac_f64_e32 v[20:21], v[24:25], v[104:105]
	v_fma_f64 v[22:23], v[24:25], v[106:107], -v[22:23]
	s_waitcnt lgkmcnt(2)
	v_mul_f64 v[24:25], v[30:31], v[102:103]
	v_mul_f64 v[26:27], v[30:31], v[100:101]
	v_accvgpr_read_b32 v30, a52
	v_accvgpr_read_b32 v29, a33
	v_accvgpr_read_b32 v32, a54
	v_accvgpr_read_b32 v33, a55
	v_fmac_f64_e32 v[24:25], v[28:29], v[100:101]
	v_fma_f64 v[26:27], v[28:29], v[102:103], -v[26:27]
	v_accvgpr_read_b32 v31, a53
	s_waitcnt lgkmcnt(1)
	v_mul_f64 v[28:29], v[32:33], v[10:11]
	v_fmac_f64_e32 v[28:29], v[30:31], v[8:9]
	v_mul_f64 v[8:9], v[32:33], v[8:9]
	v_fma_f64 v[8:9], v[30:31], v[10:11], -v[8:9]
	v_accvgpr_read_b32 v30, a48
	v_accvgpr_read_b32 v32, a50
	;; [unrolled: 1-line block ×4, first 2 shown]
	s_waitcnt lgkmcnt(0)
	v_mul_f64 v[10:11], v[32:33], v[6:7]
	v_fmac_f64_e32 v[10:11], v[30:31], v[4:5]
	v_mul_f64 v[4:5], v[32:33], v[4:5]
	v_fma_f64 v[4:5], v[30:31], v[6:7], -v[4:5]
	v_add_f64 v[6:7], v[12:13], v[10:11]
	v_add_f64 v[10:11], v[12:13], -v[10:11]
	v_add_f64 v[12:13], v[16:17], v[28:29]
	v_add_f64 v[30:31], v[14:15], v[4:5]
	v_add_f64 v[4:5], v[14:15], -v[4:5]
	v_add_f64 v[14:15], v[18:19], v[8:9]
	v_add_f64 v[8:9], v[18:19], -v[8:9]
	;; [unrolled: 2-line block ×6, first 2 shown]
	v_add_f64 v[6:7], v[6:7], -v[18:19]
	v_add_f64 v[12:13], v[18:19], -v[12:13]
	v_add_f64 v[18:19], v[18:19], v[24:25]
	v_add_f64 v[24:25], v[28:29], v[26:27]
	;; [unrolled: 1-line block ×3, first 2 shown]
	s_mov_b32 s16, 0x37e14327
	s_mov_b32 s18, 0x36b3c0b5
	;; [unrolled: 1-line block ×5, first 2 shown]
	v_add_f64 v[34:35], v[14:15], -v[30:31]
	v_add_f64 v[30:31], v[30:31], -v[28:29]
	;; [unrolled: 1-line block ×3, first 2 shown]
	v_add_f64 v[38:39], v[20:21], v[16:17]
	v_add_f64 v[40:41], v[22:23], v[8:9]
	v_add_f64 v[42:43], v[20:21], -v[16:17]
	v_add_f64 v[44:45], v[22:23], -v[8:9]
	;; [unrolled: 1-line block ×4, first 2 shown]
	v_add_f64 v[2:3], v[2:3], v[24:25]
	s_mov_b32 s17, 0x3fe948f6
	s_mov_b32 s19, 0x3fac98ee
	;; [unrolled: 1-line block ×5, first 2 shown]
	v_pk_mov_b32 v[46:47], v[0:1], v[0:1] op_sel:[0,1]
	s_mov_b32 s10, 0x5476071b
	s_mov_b32 s30, 0xb247c609
	v_add_f64 v[20:21], v[10:11], -v[20:21]
	v_add_f64 v[22:23], v[4:5], -v[22:23]
	v_add_f64 v[10:11], v[38:39], v[10:11]
	v_add_f64 v[4:5], v[40:41], v[4:5]
	v_mul_f64 v[6:7], v[6:7], s[16:17]
	v_mul_f64 v[26:27], v[30:31], s[16:17]
	;; [unrolled: 1-line block ×8, first 2 shown]
	v_fmac_f64_e32 v[46:47], s[28:29], v[18:19]
	v_pk_mov_b32 v[18:19], v[2:3], v[2:3] op_sel:[0,1]
	s_mov_b32 s11, 0x3fe77f67
	s_mov_b32 s23, 0xbfe77f67
	;; [unrolled: 1-line block ×7, first 2 shown]
	v_fmac_f64_e32 v[18:19], s[28:29], v[24:25]
	v_fma_f64 v[24:25], v[32:33], s[10:11], -v[28:29]
	v_fma_f64 v[28:29], v[34:35], s[10:11], -v[30:31]
	;; [unrolled: 1-line block ×3, first 2 shown]
	v_fmac_f64_e32 v[6:7], s[18:19], v[12:13]
	v_fma_f64 v[12:13], v[34:35], s[22:23], -v[26:27]
	v_fmac_f64_e32 v[26:27], s[18:19], v[14:15]
	v_fma_f64 v[32:33], v[16:17], s[8:9], -v[38:39]
	;; [unrolled: 2-line block ×4, first 2 shown]
	v_fma_f64 v[20:21], v[22:23], s[26:27], -v[44:45]
	s_mov_b32 s25, 0xbfdc38aa
	v_add_f64 v[42:43], v[6:7], v[46:47]
	v_add_f64 v[26:27], v[26:27], v[18:19]
	;; [unrolled: 1-line block ×6, first 2 shown]
	v_fmac_f64_e32 v[38:39], s[24:25], v[10:11]
	v_fmac_f64_e32 v[40:41], s[24:25], v[4:5]
	v_fmac_f64_e32 v[32:33], s[24:25], v[10:11]
	v_fmac_f64_e32 v[16:17], s[24:25], v[4:5]
	v_fmac_f64_e32 v[34:35], s[24:25], v[10:11]
	v_fmac_f64_e32 v[20:21], s[24:25], v[4:5]
	v_add_f64 v[4:5], v[40:41], v[42:43]
	v_add_f64 v[6:7], v[26:27], -v[38:39]
	v_add_f64 v[8:9], v[20:21], v[28:29]
	v_add_f64 v[10:11], v[30:31], -v[34:35]
	v_add_f64 v[12:13], v[22:23], -v[16:17]
	v_add_f64 v[14:15], v[32:33], v[24:25]
	v_add_f64 v[16:17], v[16:17], v[22:23]
	v_add_f64 v[18:19], v[24:25], -v[32:33]
	v_add_f64 v[20:21], v[28:29], -v[20:21]
	v_add_f64 v[22:23], v[34:35], v[30:31]
	v_add_f64 v[24:25], v[42:43], -v[40:41]
	v_add_f64 v[26:27], v[38:39], v[26:27]
	s_barrier
	ds_write_b128 v37, v[0:3]
	ds_write_b128 v37, v[4:7] offset:272
	ds_write_b128 v37, v[8:11] offset:544
	;; [unrolled: 1-line block ×6, first 2 shown]
	s_and_saveexec_b64 s[34:35], s[2:3]
	s_cbranch_execz .LBB0_21
; %bb.20:
	v_accvgpr_read_b32 v28, a28
	v_accvgpr_read_b32 v42, a76
	;; [unrolled: 1-line block ×9, first 2 shown]
	v_mul_f64 v[0:1], v[202:203], v[178:179]
	v_accvgpr_read_b32 v29, a29
	v_mul_f64 v[4:5], v[30:31], v[166:167]
	v_mul_f64 v[10:11], v[50:51], v[158:159]
	v_accvgpr_read_b32 v43, a77
	v_mul_f64 v[12:13], v[44:45], v[174:175]
	v_accvgpr_read_b32 v39, a73
	v_mul_f64 v[16:17], v[40:41], v[182:183]
	v_mul_f64 v[18:19], v[206:207], v[162:163]
	v_fmac_f64_e32 v[0:1], v[200:201], v[176:177]
	v_fmac_f64_e32 v[4:5], v[28:29], v[164:165]
	;; [unrolled: 1-line block ×6, first 2 shown]
	v_add_f64 v[8:9], v[0:1], -v[4:5]
	v_add_f64 v[2:3], v[10:11], -v[12:13]
	;; [unrolled: 1-line block ×5, first 2 shown]
	v_add_f64 v[2:3], v[2:3], v[20:21]
	v_add_f64 v[26:27], v[2:3], v[8:9]
	v_mul_f64 v[2:3], v[30:31], v[164:165]
	v_fma_f64 v[28:29], v[28:29], v[166:167], -v[2:3]
	v_mul_f64 v[2:3], v[202:203], v[176:177]
	v_fma_f64 v[30:31], v[200:201], v[178:179], -v[2:3]
	v_mul_f64 v[2:3], v[206:207], v[160:161]
	v_mul_f64 v[22:23], v[6:7], s[20:21]
	v_fma_f64 v[34:35], v[204:205], v[162:163], -v[2:3]
	v_mul_f64 v[2:3], v[40:41], v[180:181]
	v_mul_f64 v[6:7], v[44:45], v[172:173]
	v_fma_f64 v[38:39], v[38:39], v[182:183], -v[2:3]
	v_fma_f64 v[42:43], v[42:43], v[174:175], -v[6:7]
	v_mul_f64 v[6:7], v[50:51], v[156:157]
	v_add_f64 v[32:33], v[30:31], v[28:29]
	v_add_f64 v[40:41], v[38:39], v[34:35]
	v_fma_f64 v[44:45], v[48:49], v[158:159], -v[6:7]
	v_add_f64 v[54:55], v[0:1], v[4:5]
	v_add_f64 v[16:17], v[16:17], v[18:19]
	;; [unrolled: 1-line block ×10, first 2 shown]
	v_pk_mov_b32 v[48:49], v[2:3], v[2:3] op_sel:[0,1]
	v_pk_mov_b32 v[12:13], v[0:1], v[0:1] op_sel:[0,1]
	v_add_f64 v[20:21], v[20:21], -v[8:9]
	v_fmac_f64_e32 v[48:49], s[28:29], v[46:47]
	v_add_f64 v[46:47], v[32:33], -v[6:7]
	v_fmac_f64_e32 v[12:13], s[28:29], v[10:11]
	v_add_f64 v[10:11], v[54:55], -v[4:5]
	v_mul_f64 v[8:9], v[20:21], s[8:9]
	v_fma_f64 v[24:25], s[30:31], v[14:15], v[22:23]
	v_mul_f64 v[46:47], v[46:47], s[16:17]
	v_mul_f64 v[18:19], v[10:11], s[16:17]
	v_add_f64 v[4:5], v[4:5], -v[16:17]
	v_fma_f64 v[60:61], v[14:15], s[26:27], -v[8:9]
	v_add_f64 v[14:15], v[40:41], -v[32:33]
	v_mul_f64 v[56:57], v[4:5], s[18:19]
	v_fma_f64 v[4:5], s[18:19], v[4:5], v[18:19]
	v_add_f64 v[28:29], v[30:31], -v[28:29]
	v_add_f64 v[34:35], v[38:39], -v[34:35]
	v_fma_f64 v[8:9], v[14:15], s[22:23], -v[46:47]
	v_add_f64 v[16:17], v[16:17], -v[54:55]
	v_add_f64 v[6:7], v[6:7], -v[40:41]
	v_add_f64 v[58:59], v[4:5], v[12:13]
	v_add_f64 v[4:5], v[44:45], -v[42:43]
	v_add_f64 v[32:33], v[8:9], v[48:49]
	v_fma_f64 v[8:9], v[16:17], s[22:23], -v[18:19]
	v_add_f64 v[18:19], v[34:35], -v[28:29]
	v_mul_f64 v[50:51], v[6:7], s[18:19]
	v_add_f64 v[30:31], v[28:29], -v[4:5]
	v_add_f64 v[10:11], v[4:5], -v[34:35]
	v_add_f64 v[4:5], v[4:5], v[34:35]
	v_add_f64 v[40:41], v[8:9], v[12:13]
	v_mul_f64 v[8:9], v[18:19], s[8:9]
	v_mul_f64 v[38:39], v[10:11], s[20:21]
	v_add_f64 v[44:45], v[4:5], v[28:29]
	v_fma_f64 v[28:29], v[30:31], s[26:27], -v[8:9]
	v_fma_f64 v[14:15], v[14:15], s[10:11], -v[50:51]
	;; [unrolled: 1-line block ×3, first 2 shown]
	v_fma_f64 v[42:43], s[30:31], v[30:31], v[38:39]
	v_fmac_f64_e32 v[28:29], s[24:25], v[44:45]
	v_add_f64 v[30:31], v[14:15], v[48:49]
	v_fmac_f64_e32 v[20:21], s[24:25], v[26:27]
	v_fma_f64 v[6:7], s[18:19], v[6:7], v[46:47]
	v_add_f64 v[8:9], v[40:41], -v[28:29]
	v_add_f64 v[14:15], v[30:31], -v[20:21]
	v_fma_f64 v[16:17], v[16:17], s[10:11], -v[56:57]
	v_fma_f64 v[22:23], v[18:19], s[8:9], -v[38:39]
	v_add_f64 v[18:19], v[20:21], v[30:31]
	v_add_f64 v[20:21], v[28:29], v[40:41]
	v_mul_u32_u24_e32 v28, 0x77, v185
	v_fmac_f64_e32 v[24:25], s[24:25], v[26:27]
	v_add_f64 v[52:53], v[6:7], v[48:49]
	v_fmac_f64_e32 v[42:43], s[24:25], v[44:45]
	v_fmac_f64_e32 v[60:61], s[24:25], v[26:27]
	v_add_f64 v[16:17], v[16:17], v[12:13]
	v_fmac_f64_e32 v[22:23], s[24:25], v[44:45]
	v_add_lshl_u32 v28, v28, v194, 4
	v_add_f64 v[6:7], v[24:25], v[52:53]
	v_add_f64 v[4:5], v[58:59], -v[42:43]
	v_add_f64 v[10:11], v[60:61], v[32:33]
	v_add_f64 v[12:13], v[22:23], v[16:17]
	v_add_f64 v[16:17], v[16:17], -v[22:23]
	v_add_f64 v[22:23], v[32:33], -v[60:61]
	;; [unrolled: 1-line block ×3, first 2 shown]
	v_add_f64 v[24:25], v[42:43], v[58:59]
	ds_write_b128 v28, v[0:3]
	ds_write_b128 v28, v[24:27] offset:272
	ds_write_b128 v28, v[20:23] offset:544
	;; [unrolled: 1-line block ×6, first 2 shown]
.LBB0_21:
	s_or_b64 exec, exec, s[34:35]
	v_accvgpr_read_b32 v50, a68
	v_accvgpr_read_b32 v52, a70
	;; [unrolled: 1-line block ×3, first 2 shown]
	s_waitcnt lgkmcnt(0)
	s_barrier
	ds_read_b128 v[4:7], v36
	ds_read_b128 v[0:3], v36 offset:1904
	ds_read_b128 v[8:11], v36 offset:3808
	ds_read_b128 v[12:15], v36 offset:5712
	ds_read_b128 v[18:21], v36 offset:7616
	ds_read_b128 v[22:25], v36 offset:9520
	ds_read_b128 v[26:29], v36 offset:11424
	ds_read_b128 v[30:33], v36 offset:13328
	ds_read_b128 v[38:41], v36 offset:15232
	ds_read_b128 v[42:45], v36 offset:17136
	ds_read_b128 v[46:49], v36 offset:19040
	v_accvgpr_read_b32 v51, a69
	s_waitcnt lgkmcnt(9)
	v_mul_f64 v[34:35], v[52:53], v[2:3]
	v_fmac_f64_e32 v[34:35], v[50:51], v[0:1]
	v_mul_f64 v[0:1], v[52:53], v[0:1]
	v_fma_f64 v[50:51], v[50:51], v[2:3], -v[0:1]
	s_waitcnt lgkmcnt(8)
	v_mul_f64 v[0:1], v[72:73], v[8:9]
	v_fma_f64 v[54:55], v[70:71], v[10:11], -v[0:1]
	s_waitcnt lgkmcnt(7)
	;; [unrolled: 3-line block ×3, first 2 shown]
	v_mul_f64 v[16:17], v[64:65], v[20:21]
	v_mul_f64 v[0:1], v[64:65], v[18:19]
	v_fmac_f64_e32 v[16:17], v[62:63], v[18:19]
	v_fma_f64 v[18:19], v[62:63], v[20:21], -v[0:1]
	s_waitcnt lgkmcnt(5)
	v_mul_f64 v[0:1], v[90:91], v[22:23]
	v_mul_f64 v[52:53], v[72:73], v[10:11]
	v_fma_f64 v[10:11], v[88:89], v[24:25], -v[0:1]
	s_waitcnt lgkmcnt(4)
	v_mul_f64 v[0:1], v[86:87], v[26:27]
	v_fmac_f64_e32 v[52:53], v[70:71], v[8:9]
	v_mul_f64 v[56:57], v[68:69], v[14:15]
	v_mul_f64 v[8:9], v[90:91], v[24:25]
	v_fma_f64 v[14:15], v[84:85], v[28:29], -v[0:1]
	s_waitcnt lgkmcnt(3)
	v_mul_f64 v[0:1], v[82:83], v[30:31]
	v_fmac_f64_e32 v[56:57], v[66:67], v[12:13]
	v_fmac_f64_e32 v[8:9], v[88:89], v[22:23]
	v_mul_f64 v[12:13], v[86:87], v[28:29]
	v_fma_f64 v[22:23], v[80:81], v[32:33], -v[0:1]
	s_waitcnt lgkmcnt(2)
	v_mul_f64 v[0:1], v[78:79], v[38:39]
	v_fmac_f64_e32 v[12:13], v[84:85], v[26:27]
	v_mul_f64 v[20:21], v[82:83], v[32:33]
	v_fma_f64 v[26:27], v[76:77], v[40:41], -v[0:1]
	s_waitcnt lgkmcnt(1)
	v_mul_f64 v[0:1], v[98:99], v[42:43]
	;; [unrolled: 5-line block ×3, first 2 shown]
	v_fmac_f64_e32 v[24:25], v[76:77], v[38:39]
	v_fma_f64 v[38:39], v[92:93], v[48:49], -v[0:1]
	v_add_f64 v[0:1], v[4:5], v[34:35]
	v_add_f64 v[2:3], v[6:7], v[50:51]
	;; [unrolled: 1-line block ×11, first 2 shown]
	v_mul_f64 v[28:29], v[98:99], v[44:45]
	v_add_f64 v[2:3], v[2:3], v[14:15]
	v_add_f64 v[0:1], v[0:1], v[20:21]
	v_fmac_f64_e32 v[28:29], v[96:97], v[42:43]
	v_mul_f64 v[32:33], v[94:95], v[48:49]
	v_add_f64 v[2:3], v[2:3], v[22:23]
	v_add_f64 v[0:1], v[0:1], v[24:25]
	v_fmac_f64_e32 v[32:33], v[92:93], v[46:47]
	v_add_f64 v[2:3], v[2:3], v[26:27]
	v_add_f64 v[0:1], v[0:1], v[28:29]
	s_mov_b32 s20, 0xf8bb580b
	s_mov_b32 s8, 0x8eee2c13
	;; [unrolled: 1-line block ×5, first 2 shown]
	v_add_f64 v[2:3], v[2:3], v[30:31]
	v_add_f64 v[0:1], v[0:1], v[32:33]
	;; [unrolled: 1-line block ×3, first 2 shown]
	v_add_f64 v[32:33], v[34:35], -v[32:33]
	v_add_f64 v[34:35], v[50:51], -v[38:39]
	s_mov_b32 s21, 0xbfe14ced
	s_mov_b32 s22, 0x8764f0ba
	;; [unrolled: 1-line block ×10, first 2 shown]
	v_add_f64 v[2:3], v[2:3], v[38:39]
	v_add_f64 v[42:43], v[50:51], v[38:39]
	v_mul_f64 v[38:39], v[34:35], s[20:21]
	s_mov_b32 s23, 0x3feaeb8c
	v_mul_f64 v[50:51], v[34:35], s[8:9]
	s_mov_b32 s11, 0x3fda9628
	;; [unrolled: 2-line block ×5, first 2 shown]
	v_fma_f64 v[44:45], s[22:23], v[40:41], v[38:39]
	v_fma_f64 v[38:39], v[40:41], s[22:23], -v[38:39]
	v_fma_f64 v[60:61], s[10:11], v[40:41], v[50:51]
	v_fma_f64 v[50:51], v[40:41], s[10:11], -v[50:51]
	;; [unrolled: 2-line block ×5, first 2 shown]
	v_add_f64 v[44:45], v[4:5], v[44:45]
	v_mul_f64 v[46:47], v[42:43], s[22:23]
	s_mov_b32 s25, 0x3fe14ced
	s_mov_b32 s24, s20
	v_add_f64 v[38:39], v[4:5], v[38:39]
	v_add_f64 v[60:61], v[4:5], v[60:61]
	v_mul_f64 v[62:63], v[42:43], s[10:11]
	s_mov_b32 s17, 0x3fed1bb4
	s_mov_b32 s16, s8
	v_add_f64 v[50:51], v[4:5], v[50:51]
	;; [unrolled: 5-line block ×5, first 2 shown]
	v_add_f64 v[34:35], v[54:55], v[30:31]
	v_add_f64 v[30:31], v[54:55], -v[30:31]
	v_fma_f64 v[48:49], s[24:25], v[32:33], v[46:47]
	v_fmac_f64_e32 v[46:47], s[20:21], v[32:33]
	v_fma_f64 v[64:65], s[16:17], v[32:33], v[62:63]
	v_fmac_f64_e32 v[62:63], s[8:9], v[32:33]
	;; [unrolled: 2-line block ×5, first 2 shown]
	v_add_f64 v[32:33], v[52:53], v[28:29]
	v_mul_f64 v[40:41], v[30:31], s[8:9]
	v_add_f64 v[48:49], v[6:7], v[48:49]
	v_add_f64 v[46:47], v[6:7], v[46:47]
	;; [unrolled: 1-line block ×10, first 2 shown]
	v_fma_f64 v[42:43], s[10:11], v[32:33], v[40:41]
	v_add_f64 v[28:29], v[52:53], -v[28:29]
	v_add_f64 v[42:43], v[42:43], v[44:45]
	v_mul_f64 v[44:45], v[34:35], s[10:11]
	v_fma_f64 v[52:53], s[16:17], v[28:29], v[44:45]
	v_fma_f64 v[40:41], v[32:33], s[10:11], -v[40:41]
	v_fmac_f64_e32 v[44:45], s[8:9], v[28:29]
	v_add_f64 v[48:49], v[52:53], v[48:49]
	v_add_f64 v[38:39], v[40:41], v[38:39]
	;; [unrolled: 1-line block ×3, first 2 shown]
	v_mul_f64 v[44:45], v[30:31], s[28:29]
	v_mul_f64 v[52:53], v[34:35], s[30:31]
	v_fma_f64 v[46:47], s[30:31], v[32:33], v[44:45]
	v_fma_f64 v[54:55], s[34:35], v[28:29], v[52:53]
	v_fma_f64 v[44:45], v[32:33], s[30:31], -v[44:45]
	v_fmac_f64_e32 v[52:53], s[28:29], v[28:29]
	v_add_f64 v[44:45], v[44:45], v[50:51]
	v_add_f64 v[50:51], v[52:53], v[62:63]
	v_mul_f64 v[52:53], v[30:31], s[40:41]
	v_add_f64 v[46:47], v[46:47], v[60:61]
	v_fma_f64 v[60:61], s[38:39], v[32:33], v[52:53]
	v_fma_f64 v[52:53], v[32:33], s[38:39], -v[52:53]
	v_add_f64 v[52:53], v[52:53], v[66:67]
	v_mul_f64 v[66:67], v[30:31], s[26:27]
	v_add_f64 v[60:61], v[60:61], v[68:69]
	v_mul_f64 v[62:63], v[34:35], s[38:39]
	v_fma_f64 v[68:69], s[18:19], v[32:33], v[66:67]
	v_fma_f64 v[66:67], v[32:33], s[18:19], -v[66:67]
	v_mul_f64 v[30:31], v[30:31], s[24:25]
	v_add_f64 v[54:55], v[54:55], v[64:65]
	v_fma_f64 v[64:65], s[36:37], v[28:29], v[62:63]
	v_fmac_f64_e32 v[62:63], s[40:41], v[28:29]
	v_add_f64 v[66:67], v[66:67], v[74:75]
	v_fma_f64 v[74:75], s[22:23], v[32:33], v[30:31]
	v_fma_f64 v[30:31], v[32:33], s[22:23], -v[30:31]
	v_add_f64 v[62:63], v[62:63], v[70:71]
	v_mul_f64 v[70:71], v[34:35], s[18:19]
	v_mul_f64 v[34:35], v[34:35], s[22:23]
	v_add_f64 v[4:5], v[30:31], v[4:5]
	v_add_f64 v[30:31], v[58:59], v[26:27]
	v_add_f64 v[26:27], v[58:59], -v[26:27]
	v_add_f64 v[64:65], v[64:65], v[72:73]
	v_add_f64 v[68:69], v[68:69], v[76:77]
	v_fma_f64 v[72:73], s[2:3], v[28:29], v[70:71]
	v_fmac_f64_e32 v[70:71], s[26:27], v[28:29]
	v_fma_f64 v[76:77], s[20:21], v[28:29], v[34:35]
	v_fmac_f64_e32 v[34:35], s[24:25], v[28:29]
	v_add_f64 v[28:29], v[56:57], v[24:25]
	v_mul_f64 v[32:33], v[26:27], s[2:3]
	v_add_f64 v[6:7], v[34:35], v[6:7]
	v_fma_f64 v[34:35], s[18:19], v[28:29], v[32:33]
	v_add_f64 v[24:25], v[56:57], -v[24:25]
	v_add_f64 v[34:35], v[34:35], v[42:43]
	v_mul_f64 v[42:43], v[30:31], s[18:19]
	v_fma_f64 v[56:57], s[26:27], v[24:25], v[42:43]
	v_fma_f64 v[32:33], v[28:29], s[18:19], -v[32:33]
	v_fmac_f64_e32 v[42:43], s[2:3], v[24:25]
	v_add_f64 v[32:33], v[32:33], v[38:39]
	v_add_f64 v[38:39], v[42:43], v[40:41]
	v_mul_f64 v[40:41], v[26:27], s[40:41]
	v_fma_f64 v[42:43], s[38:39], v[28:29], v[40:41]
	v_add_f64 v[42:43], v[42:43], v[46:47]
	v_mul_f64 v[46:47], v[30:31], s[38:39]
	v_add_f64 v[48:49], v[56:57], v[48:49]
	v_fma_f64 v[56:57], s[36:37], v[24:25], v[46:47]
	v_fma_f64 v[40:41], v[28:29], s[38:39], -v[40:41]
	v_fmac_f64_e32 v[46:47], s[40:41], v[24:25]
	v_add_f64 v[54:55], v[56:57], v[54:55]
	v_add_f64 v[40:41], v[40:41], v[44:45]
	;; [unrolled: 1-line block ×3, first 2 shown]
	v_mul_f64 v[46:47], v[26:27], s[16:17]
	v_mul_f64 v[56:57], v[30:31], s[10:11]
	v_fma_f64 v[50:51], s[10:11], v[28:29], v[46:47]
	v_fma_f64 v[58:59], s[8:9], v[24:25], v[56:57]
	v_fma_f64 v[46:47], v[28:29], s[10:11], -v[46:47]
	v_fmac_f64_e32 v[56:57], s[16:17], v[24:25]
	v_add_f64 v[46:47], v[46:47], v[52:53]
	v_add_f64 v[52:53], v[56:57], v[62:63]
	v_mul_f64 v[56:57], v[26:27], s[20:21]
	v_add_f64 v[50:51], v[50:51], v[60:61]
	v_fma_f64 v[60:61], s[22:23], v[28:29], v[56:57]
	v_fma_f64 v[56:57], v[28:29], s[22:23], -v[56:57]
	v_mul_f64 v[26:27], v[26:27], s[28:29]
	v_add_f64 v[56:57], v[56:57], v[66:67]
	v_fma_f64 v[66:67], s[30:31], v[28:29], v[26:27]
	v_fma_f64 v[26:27], v[28:29], s[30:31], -v[26:27]
	v_mul_f64 v[62:63], v[30:31], s[22:23]
	v_mul_f64 v[30:31], v[30:31], s[30:31]
	v_add_f64 v[4:5], v[26:27], v[4:5]
	v_add_f64 v[26:27], v[18:19], v[22:23]
	v_add_f64 v[18:19], v[18:19], -v[22:23]
	v_add_f64 v[58:59], v[58:59], v[64:65]
	v_add_f64 v[60:61], v[60:61], v[68:69]
	v_fma_f64 v[64:65], s[24:25], v[24:25], v[62:63]
	v_fmac_f64_e32 v[62:63], s[20:21], v[24:25]
	v_fma_f64 v[68:69], s[34:35], v[24:25], v[30:31]
	v_fmac_f64_e32 v[30:31], s[28:29], v[24:25]
	v_add_f64 v[24:25], v[16:17], v[20:21]
	v_add_f64 v[16:17], v[16:17], -v[20:21]
	v_mul_f64 v[20:21], v[18:19], s[28:29]
	v_fma_f64 v[22:23], s[30:31], v[24:25], v[20:21]
	v_mul_f64 v[28:29], v[26:27], s[30:31]
	v_fma_f64 v[20:21], v[24:25], s[30:31], -v[20:21]
	v_add_f64 v[6:7], v[30:31], v[6:7]
	v_fma_f64 v[30:31], s[34:35], v[16:17], v[28:29]
	v_add_f64 v[20:21], v[20:21], v[32:33]
	v_fmac_f64_e32 v[28:29], s[28:29], v[16:17]
	v_mul_f64 v[32:33], v[18:19], s[26:27]
	v_add_f64 v[22:23], v[22:23], v[34:35]
	v_add_f64 v[28:29], v[28:29], v[38:39]
	v_fma_f64 v[34:35], s[18:19], v[24:25], v[32:33]
	v_mul_f64 v[38:39], v[26:27], s[18:19]
	v_fma_f64 v[32:33], v[24:25], s[18:19], -v[32:33]
	v_add_f64 v[34:35], v[34:35], v[42:43]
	v_fma_f64 v[42:43], s[2:3], v[16:17], v[38:39]
	v_add_f64 v[32:33], v[32:33], v[40:41]
	v_fmac_f64_e32 v[38:39], s[26:27], v[16:17]
	v_mul_f64 v[40:41], v[18:19], s[20:21]
	v_add_f64 v[30:31], v[30:31], v[48:49]
	v_add_f64 v[38:39], v[38:39], v[44:45]
	v_fma_f64 v[44:45], s[22:23], v[24:25], v[40:41]
	v_mul_f64 v[48:49], v[26:27], s[22:23]
	v_add_f64 v[44:45], v[44:45], v[50:51]
	v_fma_f64 v[50:51], s[24:25], v[16:17], v[48:49]
	v_fma_f64 v[40:41], v[24:25], s[22:23], -v[40:41]
	v_fmac_f64_e32 v[48:49], s[20:21], v[16:17]
	v_add_f64 v[40:41], v[40:41], v[46:47]
	v_add_f64 v[46:47], v[48:49], v[52:53]
	v_mul_f64 v[48:49], v[18:19], s[36:37]
	v_add_f64 v[72:73], v[72:73], v[80:81]
	v_add_f64 v[74:75], v[74:75], v[82:83]
	;; [unrolled: 1-line block ×4, first 2 shown]
	v_fma_f64 v[52:53], s[38:39], v[24:25], v[48:49]
	v_mul_f64 v[54:55], v[26:27], s[38:39]
	v_fma_f64 v[48:49], v[24:25], s[38:39], -v[48:49]
	v_mul_f64 v[18:19], v[18:19], s[16:17]
	v_mul_f64 v[26:27], v[26:27], s[10:11]
	v_add_f64 v[70:71], v[70:71], v[78:79]
	v_add_f64 v[64:65], v[64:65], v[72:73]
	;; [unrolled: 1-line block ×6, first 2 shown]
	v_fma_f64 v[56:57], s[10:11], v[24:25], v[18:19]
	v_fma_f64 v[60:61], s[8:9], v[16:17], v[26:27]
	v_add_f64 v[72:73], v[10:11], -v[14:15]
	v_add_f64 v[62:63], v[62:63], v[70:71]
	v_add_f64 v[50:51], v[50:51], v[58:59]
	v_fma_f64 v[58:59], s[40:41], v[16:17], v[54:55]
	v_fmac_f64_e32 v[54:55], s[36:37], v[16:17]
	v_add_f64 v[56:57], v[56:57], v[66:67]
	v_add_f64 v[60:61], v[60:61], v[68:69]
	v_fma_f64 v[18:19], v[24:25], s[10:11], -v[18:19]
	v_add_f64 v[66:67], v[8:9], v[12:13]
	v_add_f64 v[68:69], v[10:11], v[14:15]
	v_add_f64 v[70:71], v[8:9], -v[12:13]
	v_mul_f64 v[8:9], v[72:73], s[36:37]
	v_add_f64 v[54:55], v[54:55], v[62:63]
	v_add_f64 v[62:63], v[18:19], v[4:5]
	v_fmac_f64_e32 v[26:27], s[16:17], v[16:17]
	v_fma_f64 v[4:5], s[38:39], v[66:67], v[8:9]
	v_fma_f64 v[8:9], v[66:67], s[38:39], -v[8:9]
	v_mul_f64 v[16:17], v[72:73], s[24:25]
	v_mul_f64 v[18:19], v[68:69], s[22:23]
	;; [unrolled: 1-line block ×4, first 2 shown]
	v_add_f64 v[8:9], v[8:9], v[20:21]
	v_fma_f64 v[12:13], s[22:23], v[66:67], v[16:17]
	v_fma_f64 v[14:15], s[20:21], v[70:71], v[18:19]
	v_fma_f64 v[16:17], v[66:67], s[22:23], -v[16:17]
	v_fma_f64 v[20:21], s[30:31], v[66:67], v[24:25]
	v_add_f64 v[58:59], v[58:59], v[64:65]
	v_add_f64 v[64:65], v[26:27], v[6:7]
	v_fma_f64 v[6:7], s[40:41], v[70:71], v[10:11]
	v_fmac_f64_e32 v[10:11], s[36:37], v[70:71]
	v_add_f64 v[12:13], v[12:13], v[34:35]
	v_add_f64 v[14:15], v[14:15], v[42:43]
	;; [unrolled: 1-line block ×3, first 2 shown]
	v_fmac_f64_e32 v[18:19], s[24:25], v[70:71]
	v_add_f64 v[20:21], v[20:21], v[44:45]
	v_mul_f64 v[26:27], v[68:69], s[30:31]
	v_fma_f64 v[24:25], v[66:67], s[30:31], -v[24:25]
	v_mul_f64 v[32:33], v[72:73], s[16:17]
	v_mul_f64 v[34:35], v[68:69], s[10:11]
	;; [unrolled: 1-line block ×4, first 2 shown]
	v_add_f64 v[4:5], v[4:5], v[22:23]
	v_add_f64 v[6:7], v[6:7], v[30:31]
	;; [unrolled: 1-line block ×4, first 2 shown]
	v_fma_f64 v[22:23], s[34:35], v[70:71], v[26:27]
	v_add_f64 v[24:25], v[24:25], v[40:41]
	v_fmac_f64_e32 v[26:27], s[28:29], v[70:71]
	v_fma_f64 v[28:29], s[10:11], v[66:67], v[32:33]
	v_fma_f64 v[30:31], s[8:9], v[70:71], v[34:35]
	v_fma_f64 v[32:33], v[66:67], s[10:11], -v[32:33]
	v_fmac_f64_e32 v[34:35], s[16:17], v[70:71]
	v_fma_f64 v[38:39], s[18:19], v[66:67], v[42:43]
	v_fma_f64 v[40:41], s[26:27], v[70:71], v[44:45]
	v_fma_f64 v[42:43], v[66:67], s[18:19], -v[42:43]
	v_fmac_f64_e32 v[44:45], s[2:3], v[70:71]
	v_add_f64 v[22:23], v[22:23], v[50:51]
	v_add_f64 v[26:27], v[26:27], v[46:47]
	;; [unrolled: 1-line block ×10, first 2 shown]
	ds_write_b128 v36, v[0:3]
	ds_write_b128 v36, v[4:7] offset:1904
	ds_write_b128 v36, v[12:15] offset:3808
	ds_write_b128 v36, v[20:23] offset:5712
	ds_write_b128 v36, v[28:31] offset:7616
	ds_write_b128 v36, v[38:41] offset:9520
	ds_write_b128 v36, v[42:45] offset:11424
	ds_write_b128 v36, v[32:35] offset:13328
	ds_write_b128 v36, v[24:27] offset:15232
	ds_write_b128 v36, v[16:19] offset:17136
	ds_write_b128 v36, v[8:11] offset:19040
	s_waitcnt lgkmcnt(0)
	s_barrier
	s_and_b64 exec, exec, s[0:1]
	s_cbranch_execz .LBB0_23
; %bb.22:
	global_load_dwordx4 v[0:3], v36, s[12:13]
	v_accvgpr_read_b32 v26, a0
	v_mad_u64_u32 v[12:13], s[0:1], s6, v26, 0
	v_mov_b32_e32 v22, v13
	v_mad_u64_u32 v[14:15], s[2:3], s4, v184, 0
	v_mad_u64_u32 v[22:23], s[2:3], s7, v26, v[22:23]
	v_mov_b32_e32 v24, v15
	v_mov_b32_e32 v13, v22
	v_mad_u64_u32 v[24:25], s[2:3], s5, v184, v[24:25]
	v_lshlrev_b64 v[12:13], 4, v[12:13]
	v_mov_b32_e32 v16, s15
	ds_read_b128 v[4:7], v36
	ds_read_b128 v[8:11], v36 offset:1232
	ds_read_b128 v[18:21], v36 offset:19712
	v_mov_b32_e32 v15, v24
	v_add_co_u32_e32 v12, vcc, s14, v12
	v_lshlrev_b64 v[14:15], 4, v[14:15]
	v_addc_co_u32_e32 v13, vcc, v16, v13, vcc
	v_add_co_u32_e32 v12, vcc, v12, v14
	s_mov_b32 s0, 0xd336f476
	v_addc_co_u32_e32 v13, vcc, v13, v15, vcc
	s_mov_b32 s1, 0x3f490868
	v_mov_b32_e32 v22, 0x4d0
	s_mul_i32 s2, s5, 0x4d0
	v_add_co_u32_e32 v23, vcc, s12, v36
	s_movk_i32 s3, 0x1000
	s_waitcnt vmcnt(0) lgkmcnt(2)
	v_mul_f64 v[14:15], v[6:7], v[2:3]
	v_mul_f64 v[2:3], v[4:5], v[2:3]
	v_fmac_f64_e32 v[14:15], v[4:5], v[0:1]
	v_fma_f64 v[2:3], v[0:1], v[6:7], -v[2:3]
	v_mul_f64 v[0:1], v[14:15], s[0:1]
	v_mul_f64 v[2:3], v[2:3], s[0:1]
	global_store_dwordx4 v[12:13], v[0:3], off
	global_load_dwordx4 v[0:3], v36, s[12:13] offset:1232
	v_mad_u64_u32 v[12:13], s[6:7], s4, v22, v[12:13]
	v_add_u32_e32 v13, s2, v13
	s_waitcnt vmcnt(0) lgkmcnt(1)
	v_mul_f64 v[4:5], v[10:11], v[2:3]
	v_mul_f64 v[2:3], v[8:9], v[2:3]
	v_fmac_f64_e32 v[4:5], v[8:9], v[0:1]
	v_fma_f64 v[2:3], v[0:1], v[10:11], -v[2:3]
	v_mul_f64 v[0:1], v[4:5], s[0:1]
	v_mul_f64 v[2:3], v[2:3], s[0:1]
	global_store_dwordx4 v[12:13], v[0:3], off
	global_load_dwordx4 v[0:3], v36, s[12:13] offset:2464
	ds_read_b128 v[4:7], v36 offset:2464
	ds_read_b128 v[8:11], v36 offset:3696
	v_mad_u64_u32 v[12:13], s[6:7], s4, v22, v[12:13]
	v_add_u32_e32 v13, s2, v13
	s_waitcnt vmcnt(0) lgkmcnt(1)
	v_mul_f64 v[14:15], v[6:7], v[2:3]
	v_mul_f64 v[2:3], v[4:5], v[2:3]
	v_fmac_f64_e32 v[14:15], v[4:5], v[0:1]
	v_fma_f64 v[2:3], v[0:1], v[6:7], -v[2:3]
	v_mul_f64 v[0:1], v[14:15], s[0:1]
	v_mul_f64 v[2:3], v[2:3], s[0:1]
	global_store_dwordx4 v[12:13], v[0:3], off
	global_load_dwordx4 v[0:3], v36, s[12:13] offset:3696
	v_mov_b32_e32 v4, s13
	v_addc_co_u32_e32 v24, vcc, 0, v4, vcc
	v_mad_u64_u32 v[12:13], s[6:7], s4, v22, v[12:13]
	v_add_co_u32_e32 v14, vcc, s3, v23
	v_add_u32_e32 v13, s2, v13
	v_addc_co_u32_e32 v15, vcc, 0, v24, vcc
	s_movk_i32 s3, 0x2000
	s_waitcnt vmcnt(0) lgkmcnt(0)
	v_mul_f64 v[4:5], v[10:11], v[2:3]
	v_mul_f64 v[2:3], v[8:9], v[2:3]
	v_fmac_f64_e32 v[4:5], v[8:9], v[0:1]
	v_fma_f64 v[2:3], v[0:1], v[10:11], -v[2:3]
	v_mul_f64 v[0:1], v[4:5], s[0:1]
	v_mul_f64 v[2:3], v[2:3], s[0:1]
	global_store_dwordx4 v[12:13], v[0:3], off
	global_load_dwordx4 v[0:3], v[14:15], off offset:832
	ds_read_b128 v[4:7], v36 offset:4928
	ds_read_b128 v[8:11], v36 offset:6160
	v_mad_u64_u32 v[12:13], s[6:7], s4, v22, v[12:13]
	v_add_u32_e32 v13, s2, v13
	s_waitcnt vmcnt(0) lgkmcnt(1)
	v_mul_f64 v[16:17], v[6:7], v[2:3]
	v_mul_f64 v[2:3], v[4:5], v[2:3]
	v_fmac_f64_e32 v[16:17], v[4:5], v[0:1]
	v_fma_f64 v[2:3], v[0:1], v[6:7], -v[2:3]
	v_mul_f64 v[0:1], v[16:17], s[0:1]
	v_mul_f64 v[2:3], v[2:3], s[0:1]
	global_store_dwordx4 v[12:13], v[0:3], off
	global_load_dwordx4 v[0:3], v[14:15], off offset:2064
	v_mad_u64_u32 v[12:13], s[6:7], s4, v22, v[12:13]
	v_add_u32_e32 v13, s2, v13
	s_waitcnt vmcnt(0) lgkmcnt(0)
	v_mul_f64 v[4:5], v[10:11], v[2:3]
	v_mul_f64 v[2:3], v[8:9], v[2:3]
	v_fmac_f64_e32 v[4:5], v[8:9], v[0:1]
	v_fma_f64 v[2:3], v[0:1], v[10:11], -v[2:3]
	v_mul_f64 v[0:1], v[4:5], s[0:1]
	v_mul_f64 v[2:3], v[2:3], s[0:1]
	global_store_dwordx4 v[12:13], v[0:3], off
	global_load_dwordx4 v[0:3], v[14:15], off offset:3296
	ds_read_b128 v[4:7], v36 offset:7392
	ds_read_b128 v[8:11], v36 offset:8624
	v_mad_u64_u32 v[12:13], s[6:7], s4, v22, v[12:13]
	v_add_co_u32_e32 v14, vcc, s3, v23
	v_add_u32_e32 v13, s2, v13
	v_addc_co_u32_e32 v15, vcc, 0, v24, vcc
	s_movk_i32 s3, 0x3000
	s_waitcnt vmcnt(0) lgkmcnt(1)
	v_mul_f64 v[16:17], v[6:7], v[2:3]
	v_mul_f64 v[2:3], v[4:5], v[2:3]
	v_fmac_f64_e32 v[16:17], v[4:5], v[0:1]
	v_fma_f64 v[2:3], v[0:1], v[6:7], -v[2:3]
	v_mul_f64 v[0:1], v[16:17], s[0:1]
	v_mul_f64 v[2:3], v[2:3], s[0:1]
	global_store_dwordx4 v[12:13], v[0:3], off
	global_load_dwordx4 v[0:3], v[14:15], off offset:432
	v_mad_u64_u32 v[12:13], s[6:7], s4, v22, v[12:13]
	v_add_u32_e32 v13, s2, v13
	s_waitcnt vmcnt(0) lgkmcnt(0)
	v_mul_f64 v[4:5], v[10:11], v[2:3]
	v_mul_f64 v[2:3], v[8:9], v[2:3]
	v_fmac_f64_e32 v[4:5], v[8:9], v[0:1]
	v_fma_f64 v[2:3], v[0:1], v[10:11], -v[2:3]
	v_mul_f64 v[0:1], v[4:5], s[0:1]
	v_mul_f64 v[2:3], v[2:3], s[0:1]
	global_store_dwordx4 v[12:13], v[0:3], off
	global_load_dwordx4 v[0:3], v[14:15], off offset:1664
	ds_read_b128 v[4:7], v36 offset:9856
	ds_read_b128 v[8:11], v36 offset:11088
	v_mad_u64_u32 v[12:13], s[6:7], s4, v22, v[12:13]
	v_add_u32_e32 v13, s2, v13
	s_waitcnt vmcnt(0) lgkmcnt(1)
	v_mul_f64 v[16:17], v[6:7], v[2:3]
	v_mul_f64 v[2:3], v[4:5], v[2:3]
	v_fmac_f64_e32 v[16:17], v[4:5], v[0:1]
	v_fma_f64 v[2:3], v[0:1], v[6:7], -v[2:3]
	v_mul_f64 v[0:1], v[16:17], s[0:1]
	v_mul_f64 v[2:3], v[2:3], s[0:1]
	global_store_dwordx4 v[12:13], v[0:3], off
	global_load_dwordx4 v[0:3], v[14:15], off offset:2896
	v_mad_u64_u32 v[12:13], s[6:7], s4, v22, v[12:13]
	v_add_co_u32_e32 v14, vcc, s3, v23
	v_add_u32_e32 v13, s2, v13
	v_addc_co_u32_e32 v15, vcc, 0, v24, vcc
	s_movk_i32 s3, 0x4000
	s_waitcnt vmcnt(0) lgkmcnt(0)
	v_mul_f64 v[4:5], v[10:11], v[2:3]
	v_mul_f64 v[2:3], v[8:9], v[2:3]
	v_fmac_f64_e32 v[4:5], v[8:9], v[0:1]
	v_fma_f64 v[2:3], v[0:1], v[10:11], -v[2:3]
	v_mul_f64 v[0:1], v[4:5], s[0:1]
	v_mul_f64 v[2:3], v[2:3], s[0:1]
	global_store_dwordx4 v[12:13], v[0:3], off
	global_load_dwordx4 v[0:3], v[14:15], off offset:32
	ds_read_b128 v[4:7], v36 offset:12320
	ds_read_b128 v[8:11], v36 offset:13552
	v_mad_u64_u32 v[12:13], s[6:7], s4, v22, v[12:13]
	v_add_u32_e32 v13, s2, v13
	s_waitcnt vmcnt(0) lgkmcnt(1)
	v_mul_f64 v[16:17], v[6:7], v[2:3]
	v_mul_f64 v[2:3], v[4:5], v[2:3]
	v_fmac_f64_e32 v[16:17], v[4:5], v[0:1]
	v_fma_f64 v[2:3], v[0:1], v[6:7], -v[2:3]
	v_mul_f64 v[0:1], v[16:17], s[0:1]
	v_mul_f64 v[2:3], v[2:3], s[0:1]
	global_store_dwordx4 v[12:13], v[0:3], off
	global_load_dwordx4 v[0:3], v[14:15], off offset:1264
	v_mad_u64_u32 v[12:13], s[6:7], s4, v22, v[12:13]
	v_add_u32_e32 v13, s2, v13
	s_waitcnt vmcnt(0) lgkmcnt(0)
	v_mul_f64 v[4:5], v[10:11], v[2:3]
	v_mul_f64 v[2:3], v[8:9], v[2:3]
	v_fmac_f64_e32 v[4:5], v[8:9], v[0:1]
	v_fma_f64 v[2:3], v[0:1], v[10:11], -v[2:3]
	v_mul_f64 v[0:1], v[4:5], s[0:1]
	v_mul_f64 v[2:3], v[2:3], s[0:1]
	global_store_dwordx4 v[12:13], v[0:3], off
	global_load_dwordx4 v[0:3], v[14:15], off offset:2496
	ds_read_b128 v[4:7], v36 offset:14784
	ds_read_b128 v[8:11], v36 offset:16016
	v_mad_u64_u32 v[12:13], s[6:7], s4, v22, v[12:13]
	v_add_u32_e32 v13, s2, v13
	s_waitcnt vmcnt(0) lgkmcnt(1)
	v_mul_f64 v[16:17], v[6:7], v[2:3]
	v_mul_f64 v[2:3], v[4:5], v[2:3]
	v_fmac_f64_e32 v[16:17], v[4:5], v[0:1]
	v_fma_f64 v[2:3], v[0:1], v[6:7], -v[2:3]
	v_mul_f64 v[0:1], v[16:17], s[0:1]
	v_mul_f64 v[2:3], v[2:3], s[0:1]
	global_store_dwordx4 v[12:13], v[0:3], off
	global_load_dwordx4 v[0:3], v[14:15], off offset:3728
	v_mad_u64_u32 v[12:13], s[6:7], s4, v22, v[12:13]
	v_add_co_u32_e32 v14, vcc, s3, v23
	v_add_u32_e32 v13, s2, v13
	v_addc_co_u32_e32 v15, vcc, 0, v24, vcc
	s_waitcnt vmcnt(0) lgkmcnt(0)
	v_mul_f64 v[4:5], v[10:11], v[2:3]
	v_mul_f64 v[2:3], v[8:9], v[2:3]
	v_fmac_f64_e32 v[4:5], v[8:9], v[0:1]
	v_fma_f64 v[2:3], v[0:1], v[10:11], -v[2:3]
	v_mul_f64 v[0:1], v[4:5], s[0:1]
	v_mul_f64 v[2:3], v[2:3], s[0:1]
	global_store_dwordx4 v[12:13], v[0:3], off
	global_load_dwordx4 v[0:3], v[14:15], off offset:864
	ds_read_b128 v[4:7], v36 offset:17248
	ds_read_b128 v[8:11], v36 offset:18480
	v_mad_u64_u32 v[12:13], s[6:7], s4, v22, v[12:13]
	v_add_u32_e32 v13, s2, v13
	s_waitcnt vmcnt(0) lgkmcnt(1)
	v_mul_f64 v[16:17], v[6:7], v[2:3]
	v_mul_f64 v[2:3], v[4:5], v[2:3]
	v_fmac_f64_e32 v[16:17], v[4:5], v[0:1]
	v_fma_f64 v[2:3], v[0:1], v[6:7], -v[2:3]
	v_mul_f64 v[0:1], v[16:17], s[0:1]
	v_mul_f64 v[2:3], v[2:3], s[0:1]
	global_store_dwordx4 v[12:13], v[0:3], off
	global_load_dwordx4 v[0:3], v[14:15], off offset:2096
	v_mad_u64_u32 v[4:5], s[6:7], s4, v22, v[12:13]
	v_add_u32_e32 v5, s2, v5
	s_waitcnt vmcnt(0) lgkmcnt(0)
	v_mul_f64 v[6:7], v[10:11], v[2:3]
	v_mul_f64 v[2:3], v[8:9], v[2:3]
	v_fmac_f64_e32 v[6:7], v[8:9], v[0:1]
	v_fma_f64 v[2:3], v[0:1], v[10:11], -v[2:3]
	v_mul_f64 v[0:1], v[6:7], s[0:1]
	v_mul_f64 v[2:3], v[2:3], s[0:1]
	global_store_dwordx4 v[4:5], v[0:3], off
	global_load_dwordx4 v[0:3], v[14:15], off offset:3328
	v_mad_u64_u32 v[4:5], s[4:5], s4, v22, v[4:5]
	v_add_u32_e32 v5, s2, v5
	s_waitcnt vmcnt(0)
	v_mul_f64 v[6:7], v[20:21], v[2:3]
	v_mul_f64 v[2:3], v[18:19], v[2:3]
	v_fmac_f64_e32 v[6:7], v[18:19], v[0:1]
	v_fma_f64 v[2:3], v[0:1], v[20:21], -v[2:3]
	v_mul_f64 v[0:1], v[6:7], s[0:1]
	v_mul_f64 v[2:3], v[2:3], s[0:1]
	global_store_dwordx4 v[4:5], v[0:3], off
.LBB0_23:
	s_endpgm
	.section	.rodata,"a",@progbits
	.p2align	6, 0x0
	.amdhsa_kernel bluestein_single_fwd_len1309_dim1_dp_op_CI_CI
		.amdhsa_group_segment_fixed_size 20944
		.amdhsa_private_segment_fixed_size 0
		.amdhsa_kernarg_size 104
		.amdhsa_user_sgpr_count 6
		.amdhsa_user_sgpr_private_segment_buffer 1
		.amdhsa_user_sgpr_dispatch_ptr 0
		.amdhsa_user_sgpr_queue_ptr 0
		.amdhsa_user_sgpr_kernarg_segment_ptr 1
		.amdhsa_user_sgpr_dispatch_id 0
		.amdhsa_user_sgpr_flat_scratch_init 0
		.amdhsa_user_sgpr_kernarg_preload_length 0
		.amdhsa_user_sgpr_kernarg_preload_offset 0
		.amdhsa_user_sgpr_private_segment_size 0
		.amdhsa_uses_dynamic_stack 0
		.amdhsa_system_sgpr_private_segment_wavefront_offset 0
		.amdhsa_system_sgpr_workgroup_id_x 1
		.amdhsa_system_sgpr_workgroup_id_y 0
		.amdhsa_system_sgpr_workgroup_id_z 0
		.amdhsa_system_sgpr_workgroup_info 0
		.amdhsa_system_vgpr_workitem_id 0
		.amdhsa_next_free_vgpr 366
		.amdhsa_next_free_sgpr 64
		.amdhsa_accum_offset 256
		.amdhsa_reserve_vcc 1
		.amdhsa_reserve_flat_scratch 0
		.amdhsa_float_round_mode_32 0
		.amdhsa_float_round_mode_16_64 0
		.amdhsa_float_denorm_mode_32 3
		.amdhsa_float_denorm_mode_16_64 3
		.amdhsa_dx10_clamp 1
		.amdhsa_ieee_mode 1
		.amdhsa_fp16_overflow 0
		.amdhsa_tg_split 0
		.amdhsa_exception_fp_ieee_invalid_op 0
		.amdhsa_exception_fp_denorm_src 0
		.amdhsa_exception_fp_ieee_div_zero 0
		.amdhsa_exception_fp_ieee_overflow 0
		.amdhsa_exception_fp_ieee_underflow 0
		.amdhsa_exception_fp_ieee_inexact 0
		.amdhsa_exception_int_div_zero 0
	.end_amdhsa_kernel
	.text
.Lfunc_end0:
	.size	bluestein_single_fwd_len1309_dim1_dp_op_CI_CI, .Lfunc_end0-bluestein_single_fwd_len1309_dim1_dp_op_CI_CI
                                        ; -- End function
	.section	.AMDGPU.csdata,"",@progbits
; Kernel info:
; codeLenInByte = 31628
; NumSgprs: 68
; NumVgprs: 256
; NumAgprs: 110
; TotalNumVgprs: 366
; ScratchSize: 0
; MemoryBound: 0
; FloatMode: 240
; IeeeMode: 1
; LDSByteSize: 20944 bytes/workgroup (compile time only)
; SGPRBlocks: 8
; VGPRBlocks: 45
; NumSGPRsForWavesPerEU: 68
; NumVGPRsForWavesPerEU: 366
; AccumOffset: 256
; Occupancy: 1
; WaveLimiterHint : 1
; COMPUTE_PGM_RSRC2:SCRATCH_EN: 0
; COMPUTE_PGM_RSRC2:USER_SGPR: 6
; COMPUTE_PGM_RSRC2:TRAP_HANDLER: 0
; COMPUTE_PGM_RSRC2:TGID_X_EN: 1
; COMPUTE_PGM_RSRC2:TGID_Y_EN: 0
; COMPUTE_PGM_RSRC2:TGID_Z_EN: 0
; COMPUTE_PGM_RSRC2:TIDIG_COMP_CNT: 0
; COMPUTE_PGM_RSRC3_GFX90A:ACCUM_OFFSET: 63
; COMPUTE_PGM_RSRC3_GFX90A:TG_SPLIT: 0
	.text
	.p2alignl 6, 3212836864
	.fill 256, 4, 3212836864
	.type	__hip_cuid_d4dc736d7c318797,@object ; @__hip_cuid_d4dc736d7c318797
	.section	.bss,"aw",@nobits
	.globl	__hip_cuid_d4dc736d7c318797
__hip_cuid_d4dc736d7c318797:
	.byte	0                               ; 0x0
	.size	__hip_cuid_d4dc736d7c318797, 1

	.ident	"AMD clang version 19.0.0git (https://github.com/RadeonOpenCompute/llvm-project roc-6.4.0 25133 c7fe45cf4b819c5991fe208aaa96edf142730f1d)"
	.section	".note.GNU-stack","",@progbits
	.addrsig
	.addrsig_sym __hip_cuid_d4dc736d7c318797
	.amdgpu_metadata
---
amdhsa.kernels:
  - .agpr_count:     110
    .args:
      - .actual_access:  read_only
        .address_space:  global
        .offset:         0
        .size:           8
        .value_kind:     global_buffer
      - .actual_access:  read_only
        .address_space:  global
        .offset:         8
        .size:           8
        .value_kind:     global_buffer
      - .actual_access:  read_only
        .address_space:  global
        .offset:         16
        .size:           8
        .value_kind:     global_buffer
      - .actual_access:  read_only
        .address_space:  global
        .offset:         24
        .size:           8
        .value_kind:     global_buffer
      - .actual_access:  read_only
        .address_space:  global
        .offset:         32
        .size:           8
        .value_kind:     global_buffer
      - .offset:         40
        .size:           8
        .value_kind:     by_value
      - .address_space:  global
        .offset:         48
        .size:           8
        .value_kind:     global_buffer
      - .address_space:  global
        .offset:         56
        .size:           8
        .value_kind:     global_buffer
      - .address_space:  global
        .offset:         64
        .size:           8
        .value_kind:     global_buffer
      - .address_space:  global
        .offset:         72
        .size:           8
        .value_kind:     global_buffer
      - .offset:         80
        .size:           4
        .value_kind:     by_value
      - .address_space:  global
        .offset:         88
        .size:           8
        .value_kind:     global_buffer
      - .address_space:  global
        .offset:         96
        .size:           8
        .value_kind:     global_buffer
    .group_segment_fixed_size: 20944
    .kernarg_segment_align: 8
    .kernarg_segment_size: 104
    .language:       OpenCL C
    .language_version:
      - 2
      - 0
    .max_flat_workgroup_size: 119
    .name:           bluestein_single_fwd_len1309_dim1_dp_op_CI_CI
    .private_segment_fixed_size: 0
    .sgpr_count:     68
    .sgpr_spill_count: 0
    .symbol:         bluestein_single_fwd_len1309_dim1_dp_op_CI_CI.kd
    .uniform_work_group_size: 1
    .uses_dynamic_stack: false
    .vgpr_count:     366
    .vgpr_spill_count: 0
    .wavefront_size: 64
amdhsa.target:   amdgcn-amd-amdhsa--gfx90a
amdhsa.version:
  - 1
  - 2
...

	.end_amdgpu_metadata
